;; amdgpu-corpus repo=ROCm/rocFFT kind=compiled arch=gfx1201 opt=O3
	.text
	.amdgcn_target "amdgcn-amd-amdhsa--gfx1201"
	.amdhsa_code_object_version 6
	.protected	bluestein_single_fwd_len325_dim1_sp_op_CI_CI ; -- Begin function bluestein_single_fwd_len325_dim1_sp_op_CI_CI
	.globl	bluestein_single_fwd_len325_dim1_sp_op_CI_CI
	.p2align	8
	.type	bluestein_single_fwd_len325_dim1_sp_op_CI_CI,@function
bluestein_single_fwd_len325_dim1_sp_op_CI_CI: ; @bluestein_single_fwd_len325_dim1_sp_op_CI_CI
; %bb.0:
	s_load_b128 s[12:15], s[0:1], 0x28
	v_mul_u32_u24_e32 v1, 0x13b2, v0
	v_mov_b32_e32 v135, 0
	s_mov_b32 s2, exec_lo
	s_delay_alu instid0(VALU_DEP_2) | instskip(NEXT) | instid1(VALU_DEP_1)
	v_lshrrev_b32_e32 v4, 16, v1
	v_lshl_add_u32 v134, ttmp9, 2, v4
	s_wait_kmcnt 0x0
	s_delay_alu instid0(VALU_DEP_1)
	v_cmpx_gt_u64_e64 s[12:13], v[134:135]
	s_cbranch_execz .LBB0_15
; %bb.1:
	s_clause 0x1
	s_load_b128 s[4:7], s[0:1], 0x18
	s_load_b64 s[12:13], s[0:1], 0x0
	v_mul_lo_u16 v1, v4, 13
	s_delay_alu instid0(VALU_DEP_1) | instskip(NEXT) | instid1(VALU_DEP_1)
	v_sub_nc_u16 v35, v0, v1
	v_and_b32_e32 v155, 0xffff, v35
	s_delay_alu instid0(VALU_DEP_1)
	v_lshlrev_b32_e32 v98, 3, v155
	s_wait_kmcnt 0x0
	s_load_b128 s[8:11], s[4:5], 0x0
	s_clause 0xa
	global_load_b64 v[145:146], v98, s[12:13]
	global_load_b64 v[147:148], v98, s[12:13] offset:200
	global_load_b64 v[143:144], v98, s[12:13] offset:400
	;; [unrolled: 1-line block ×10, first 2 shown]
	s_wait_kmcnt 0x0
	v_mad_co_u64_u32 v[0:1], null, s10, v134, 0
	v_mad_co_u64_u32 v[2:3], null, s8, v155, 0
	s_mul_u64 s[2:3], s[8:9], 25
	s_delay_alu instid0(VALU_DEP_1) | instskip(NEXT) | instid1(VALU_DEP_2)
	v_mad_co_u64_u32 v[5:6], null, s11, v134, v[1:2]
	v_mad_co_u64_u32 v[6:7], null, s9, v155, v[3:4]
	v_and_b32_e32 v4, 3, v4
	s_load_b64 s[10:11], s[0:1], 0x38
	s_delay_alu instid0(VALU_DEP_3) | instskip(NEXT) | instid1(VALU_DEP_2)
	v_mov_b32_e32 v1, v5
	v_mul_u32_u24_e32 v4, 0x145, v4
	s_delay_alu instid0(VALU_DEP_4) | instskip(NEXT) | instid1(VALU_DEP_3)
	v_mov_b32_e32 v3, v6
	v_lshlrev_b64_e32 v[0:1], 3, v[0:1]
	s_delay_alu instid0(VALU_DEP_2) | instskip(NEXT) | instid1(VALU_DEP_2)
	v_lshlrev_b64_e32 v[5:6], 3, v[2:3]
	v_add_co_u32 v2, vcc_lo, s14, v0
	s_delay_alu instid0(VALU_DEP_3) | instskip(SKIP_1) | instid1(VALU_DEP_2)
	v_add_co_ci_u32_e32 v3, vcc_lo, s15, v1, vcc_lo
	s_lshl_b64 s[14:15], s[2:3], 3
	v_add_co_u32 v0, vcc_lo, v2, v5
	s_wait_alu 0xfffd
	s_delay_alu instid0(VALU_DEP_2)
	v_add_co_ci_u32_e32 v1, vcc_lo, v3, v6, vcc_lo
	v_add_co_u32 v120, s2, s12, v98
	s_wait_alu 0xfffe
	v_add_co_u32 v5, vcc_lo, v0, s14
	s_wait_alu 0xfffd
	v_add_co_ci_u32_e32 v6, vcc_lo, s15, v1, vcc_lo
	v_add_co_ci_u32_e64 v121, null, s13, 0, s2
	s_delay_alu instid0(VALU_DEP_3) | instskip(SKIP_1) | instid1(VALU_DEP_3)
	v_add_co_u32 v7, vcc_lo, v5, s14
	s_wait_alu 0xfffd
	v_add_co_ci_u32_e32 v8, vcc_lo, s15, v6, vcc_lo
	s_clause 0x1
	global_load_b64 v[11:12], v[0:1], off
	global_load_b64 v[5:6], v[5:6], off
	v_add_co_u32 v9, vcc_lo, v7, s14
	s_wait_alu 0xfffd
	v_add_co_ci_u32_e32 v10, vcc_lo, s15, v8, vcc_lo
	v_lshlrev_b32_e32 v156, 3, v4
	s_delay_alu instid0(VALU_DEP_3) | instskip(SKIP_1) | instid1(VALU_DEP_3)
	v_add_co_u32 v0, vcc_lo, v9, s14
	s_wait_alu 0xfffd
	v_add_co_ci_u32_e32 v1, vcc_lo, s15, v10, vcc_lo
	s_clause 0x1
	global_load_b64 v[7:8], v[7:8], off
	global_load_b64 v[9:10], v[9:10], off
	v_add_co_u32 v13, vcc_lo, v0, s14
	s_wait_alu 0xfffd
	v_add_co_ci_u32_e32 v14, vcc_lo, s15, v1, vcc_lo
	global_load_b64 v[15:16], v[0:1], off
	v_add_co_u32 v0, vcc_lo, v13, s14
	s_wait_alu 0xfffd
	v_add_co_ci_u32_e32 v1, vcc_lo, s15, v14, vcc_lo
	;; [unrolled: 4-line block ×6, first 2 shown]
	global_load_b64 v[21:22], v[21:22], off
	v_add_co_u32 v25, vcc_lo, v0, s14
	global_load_b64 v[27:28], v[0:1], off
	s_wait_alu 0xfffd
	v_add_co_ci_u32_e32 v26, vcc_lo, s15, v1, vcc_lo
	v_add_co_u32 v0, vcc_lo, v25, s14
	s_wait_alu 0xfffd
	s_delay_alu instid0(VALU_DEP_2)
	v_add_co_ci_u32_e32 v1, vcc_lo, s15, v26, vcc_lo
	global_load_b64 v[135:136], v98, s[12:13] offset:2200
	global_load_b64 v[25:26], v[25:26], off
	global_load_b64 v[137:138], v98, s[12:13] offset:2400
	global_load_b64 v[29:30], v[0:1], off
	s_load_b128 s[4:7], s[6:7], 0x0
	v_cmp_gt_u16_e32 vcc_lo, 12, v35
	s_wait_loadcnt 0xe
	v_mul_f32_e32 v31, v12, v146
	s_wait_loadcnt 0xd
	v_dual_mul_f32 v33, v6, v148 :: v_dual_add_nc_u32 v154, v156, v98
	v_mul_f32_e32 v34, v5, v148
	v_mul_f32_e32 v4, v11, v146
	v_fmac_f32_e32 v31, v11, v145
	s_delay_alu instid0(VALU_DEP_4)
	v_fmac_f32_e32 v33, v5, v147
	v_or_b32_e32 v153, 0x120, v155
	v_fma_f32 v34, v6, v147, -v34
	v_fma_f32 v32, v12, v145, -v4
	s_wait_loadcnt 0xc
	v_mul_f32_e32 v6, v7, v144
	v_dual_mul_f32 v5, v8, v144 :: v_dual_add_nc_u32 v4, 0x400, v154
	s_wait_loadcnt 0xb
	v_mul_f32_e32 v11, v10, v140
	ds_store_2addr_b64 v154, v[31:32], v[33:34] offset1:25
	v_fma_f32 v6, v8, v143, -v6
	v_dual_fmac_f32 v5, v7, v143 :: v_dual_mul_f32 v8, v9, v140
	s_wait_loadcnt 0xa
	v_mul_f32_e32 v7, v16, v142
	s_wait_loadcnt 0x9
	v_dual_mul_f32 v31, v15, v142 :: v_dual_mul_f32 v32, v13, v129
	v_fmac_f32_e32 v11, v9, v139
	v_mul_f32_e32 v9, v14, v129
	v_fma_f32 v12, v10, v139, -v8
	s_delay_alu instid0(VALU_DEP_4)
	v_fma_f32 v8, v16, v141, -v31
	v_fma_f32 v10, v14, v128, -v32
	s_wait_loadcnt 0x4
	v_dual_fmac_f32 v9, v13, v128 :: v_dual_mul_f32 v14, v27, v125
	ds_store_2addr_b64 v154, v[5:6], v[11:12] offset0:50 offset1:75
	v_mul_f32_e32 v6, v19, v131
	v_fmac_f32_e32 v7, v15, v141
	v_mul_f32_e32 v11, v18, v133
	s_wait_loadcnt 0x2
	v_dual_mul_f32 v5, v20, v131 :: v_dual_mul_f32 v16, v25, v136
	v_mul_f32_e32 v13, v28, v125
	ds_store_2addr_b64 v154, v[7:8], v[9:10] offset0:100 offset1:125
	v_dual_mul_f32 v8, v17, v133 :: v_dual_mul_f32 v7, v24, v123
	v_mul_f32_e32 v9, v22, v127
	v_dual_mul_f32 v10, v21, v127 :: v_dual_mul_f32 v15, v26, v136
	s_delay_alu instid0(VALU_DEP_3)
	v_fma_f32 v12, v18, v132, -v8
	v_mul_f32_e32 v8, v23, v123
	s_wait_loadcnt 0x0
	v_mul_f32_e32 v18, v29, v138
	v_fmac_f32_e32 v11, v17, v132
	v_mul_f32_e32 v17, v30, v138
	v_fmac_f32_e32 v5, v19, v130
	v_fma_f32 v6, v20, v130, -v6
	v_fmac_f32_e32 v7, v23, v122
	v_fma_f32 v8, v24, v122, -v8
	v_fmac_f32_e32 v9, v21, v126
	v_fma_f32 v10, v22, v126, -v10
	v_fmac_f32_e32 v13, v27, v124
	v_fma_f32 v14, v28, v124, -v14
	v_fmac_f32_e32 v15, v25, v135
	v_fma_f32 v16, v26, v135, -v16
	v_fmac_f32_e32 v17, v29, v137
	v_fma_f32 v18, v30, v137, -v18
	ds_store_2addr_b64 v154, v[5:6], v[11:12] offset0:150 offset1:175
	ds_store_2addr_b64 v154, v[7:8], v[9:10] offset0:200 offset1:225
	;; [unrolled: 1-line block ×3, first 2 shown]
	ds_store_b64 v154, v[17:18] offset:2400
	s_and_saveexec_b32 s3, vcc_lo
	s_cbranch_execz .LBB0_3
; %bb.2:
	v_mad_co_u64_u32 v[0:1], null, 0xfffff708, s8, v[0:1]
	s_mul_i32 s2, s9, 0xfffff708
	s_clause 0x3
	global_load_b64 v[9:10], v[120:121], off offset:104
	global_load_b64 v[11:12], v[120:121], off offset:304
	;; [unrolled: 1-line block ×4, first 2 shown]
	s_wait_alu 0xfffe
	s_sub_co_i32 s2, s2, s8
	v_mad_co_u64_u32 v[19:20], null, s8, v153, 0
	s_wait_alu 0xfffe
	v_add_nc_u32_e32 v1, s2, v1
	v_add_co_u32 v5, s2, v0, s14
	s_wait_alu 0xf1ff
	s_delay_alu instid0(VALU_DEP_2) | instskip(NEXT) | instid1(VALU_DEP_2)
	v_add_co_ci_u32_e64 v6, s2, s15, v1, s2
	v_add_co_u32 v7, s2, v5, s14
	s_wait_alu 0xf1ff
	s_delay_alu instid0(VALU_DEP_2) | instskip(NEXT) | instid1(VALU_DEP_2)
	v_add_co_ci_u32_e64 v8, s2, s15, v6, s2
	v_add_co_u32 v17, s2, v7, s14
	s_wait_alu 0xf1ff
	s_delay_alu instid0(VALU_DEP_2)
	v_add_co_ci_u32_e64 v18, s2, s15, v8, s2
	global_load_b64 v[0:1], v[0:1], off
	global_load_b64 v[5:6], v[5:6], off
	;; [unrolled: 1-line block ×4, first 2 shown]
	v_add_co_u32 v17, s2, v17, s14
	s_wait_alu 0xf1ff
	v_add_co_ci_u32_e64 v18, s2, s15, v18, s2
	s_delay_alu instid0(VALU_DEP_2) | instskip(SKIP_1) | instid1(VALU_DEP_2)
	v_add_co_u32 v23, s2, v17, s14
	s_wait_alu 0xf1ff
	v_add_co_ci_u32_e64 v24, s2, s15, v18, s2
	global_load_b64 v[17:18], v[17:18], off
	s_wait_loadcnt 0x4
	v_mul_f32_e32 v55, v1, v10
	s_wait_loadcnt 0x1
	v_mad_co_u64_u32 v[25:26], null, s9, v153, v[20:21]
	v_add_co_u32 v26, s2, v23, s14
	s_wait_alu 0xf1ff
	v_add_co_ci_u32_e64 v27, s2, s15, v24, s2
	v_fmac_f32_e32 v55, v0, v9
	s_delay_alu instid0(VALU_DEP_3) | instskip(SKIP_1) | instid1(VALU_DEP_3)
	v_add_co_u32 v28, s2, v26, s14
	s_wait_alu 0xf1ff
	v_add_co_ci_u32_e64 v29, s2, s15, v27, s2
	v_mov_b32_e32 v20, v25
	s_delay_alu instid0(VALU_DEP_3) | instskip(SKIP_1) | instid1(VALU_DEP_3)
	v_add_co_u32 v30, s2, v28, s14
	s_wait_alu 0xf1ff
	v_add_co_ci_u32_e64 v31, s2, s15, v29, s2
	s_delay_alu instid0(VALU_DEP_3) | instskip(NEXT) | instid1(VALU_DEP_3)
	v_lshlrev_b64_e32 v[19:20], 3, v[19:20]
	v_add_co_u32 v32, s2, v30, s14
	s_wait_alu 0xf1ff
	s_delay_alu instid0(VALU_DEP_3) | instskip(NEXT) | instid1(VALU_DEP_3)
	v_add_co_ci_u32_e64 v33, s2, s15, v31, s2
	v_add_co_u32 v2, s2, v2, v19
	s_wait_alu 0xf1ff
	v_add_co_ci_u32_e64 v3, s2, v3, v20, s2
	global_load_b64 v[34:35], v[120:121], off offset:904
	global_load_b64 v[2:3], v[2:3], off
	global_load_b64 v[36:37], v[120:121], off offset:2304
	global_load_b64 v[23:24], v[23:24], off
	;; [unrolled: 2-line block ×4, first 2 shown]
	global_load_b64 v[44:45], v[120:121], off offset:1504
	v_add_co_u32 v19, s2, v32, s14
	s_wait_alu 0xf1ff
	v_add_co_ci_u32_e64 v20, s2, s15, v33, s2
	s_delay_alu instid0(VALU_DEP_1) | instskip(NEXT) | instid1(VALU_DEP_1)
	v_mad_co_u64_u32 v[38:39], null, 0x190, s8, v[19:20]
	v_mov_b32_e32 v27, v39
	s_wait_loadcnt 0x1
	s_delay_alu instid0(VALU_DEP_1)
	v_mad_co_u64_u32 v[46:47], null, 0x190, s9, v[27:28]
	global_load_b64 v[30:31], v[30:31], off
	global_load_b64 v[47:48], v[120:121], off offset:1704
	global_load_b64 v[32:33], v[32:33], off
	global_load_b64 v[49:50], v[120:121], off offset:1904
	v_dual_mul_f32 v27, v0, v10 :: v_dual_mul_f32 v10, v6, v12
	v_mul_f32_e32 v12, v5, v12
	v_dual_mul_f32 v0, v8, v14 :: v_dual_mov_b32 v39, v46
	global_load_b64 v[51:52], v[120:121], off offset:2104
	global_load_b64 v[19:20], v[19:20], off
	global_load_b64 v[53:54], v[120:121], off offset:2504
	global_load_b64 v[38:39], v[38:39], off
	v_add_nc_u32_e32 v46, 0x800, v154
	v_fmac_f32_e32 v10, v5, v11
	v_fma_f32 v56, v1, v9, -v27
	v_fma_f32 v11, v6, v11, -v12
	v_dual_mul_f32 v1, v7, v14 :: v_dual_mul_f32 v6, v21, v16
	v_dual_mul_f32 v5, v22, v16 :: v_dual_fmac_f32 v0, v7, v13
	v_mul_f32_e32 v7, v18, v35
	s_delay_alu instid0(VALU_DEP_3) | instskip(NEXT) | instid1(VALU_DEP_4)
	v_fma_f32 v1, v8, v13, -v1
	v_fma_f32 v6, v22, v15, -v6
	s_delay_alu instid0(VALU_DEP_4)
	v_fmac_f32_e32 v5, v21, v15
	v_dual_mul_f32 v8, v17, v35 :: v_dual_mul_f32 v9, v3, v37
	ds_store_2addr_b64 v154, v[55:56], v[10:11] offset0:13 offset1:38
	v_mul_f32_e32 v10, v2, v37
	ds_store_2addr_b64 v154, v[0:1], v[5:6] offset0:63 offset1:88
	s_wait_loadcnt 0x8
	v_mul_f32_e32 v5, v29, v45
	v_dual_mul_f32 v0, v24, v41 :: v_dual_fmac_f32 v7, v17, v34
	v_dual_fmac_f32 v9, v2, v36 :: v_dual_mul_f32 v6, v28, v45
	v_dual_mul_f32 v2, v26, v43 :: v_dual_mul_f32 v1, v23, v41
	v_fma_f32 v10, v3, v36, -v10
	s_delay_alu instid0(VALU_DEP_4) | instskip(SKIP_1) | instid1(VALU_DEP_4)
	v_dual_mul_f32 v3, v25, v43 :: v_dual_fmac_f32 v0, v23, v40
	v_fma_f32 v8, v18, v34, -v8
	v_fmac_f32_e32 v2, v25, v42
	v_fma_f32 v1, v24, v40, -v1
	s_delay_alu instid0(VALU_DEP_4)
	v_fma_f32 v3, v26, v42, -v3
	v_fma_f32 v6, v29, v44, -v6
	s_wait_loadcnt 0x6
	v_mul_f32_e32 v11, v31, v48
	v_mul_f32_e32 v12, v30, v48
	s_wait_loadcnt 0x4
	v_mul_f32_e32 v14, v32, v50
	v_mul_f32_e32 v13, v33, v50
	v_fmac_f32_e32 v5, v28, v44
	v_fmac_f32_e32 v11, v30, v47
	v_fma_f32 v12, v31, v47, -v12
	v_fma_f32 v14, v33, v49, -v14
	s_wait_loadcnt 0x2
	v_mul_f32_e32 v15, v20, v52
	v_mul_f32_e32 v16, v19, v52
	s_wait_loadcnt 0x0
	v_mul_f32_e32 v18, v38, v54
	v_mul_f32_e32 v17, v39, v54
	v_fmac_f32_e32 v13, v32, v49
	v_fmac_f32_e32 v15, v19, v51
	v_fma_f32 v16, v20, v51, -v16
	v_fma_f32 v18, v39, v53, -v18
	v_fmac_f32_e32 v17, v38, v53
	ds_store_2addr_b64 v154, v[7:8], v[0:1] offset0:113 offset1:138
	ds_store_2addr_b64 v154, v[2:3], v[5:6] offset0:163 offset1:188
	;; [unrolled: 1-line block ×4, first 2 shown]
	ds_store_b64 v154, v[17:18] offset:2504
.LBB0_3:
	s_wait_alu 0xfffe
	s_or_b32 exec_lo, exec_lo, s3
	global_wb scope:SCOPE_SE
	s_wait_dscnt 0x0
	s_wait_kmcnt 0x0
	s_barrier_signal -1
	s_barrier_wait -1
	global_inv scope:SCOPE_SE
	ds_load_2addr_b64 v[44:47], v154 offset1:25
	ds_load_2addr_b64 v[36:39], v154 offset0:50 offset1:75
	ds_load_2addr_b64 v[28:31], v154 offset0:100 offset1:125
	;; [unrolled: 1-line block ×5, first 2 shown]
	ds_load_b64 v[50:51], v154 offset:2400
	s_load_b64 s[0:1], s[0:1], 0x8
	v_mov_b32_e32 v0, 0
	v_mov_b32_e32 v1, 0
                                        ; implicit-def: $vgpr14
                                        ; implicit-def: $vgpr8
                                        ; implicit-def: $vgpr4
                                        ; implicit-def: $vgpr48
                                        ; implicit-def: $vgpr18
                                        ; implicit-def: $vgpr22
	s_and_saveexec_b32 s2, vcc_lo
	s_cbranch_execz .LBB0_5
; %bb.4:
	v_add_nc_u32_e32 v4, 0x800, v154
	ds_load_2addr_b64 v[0:3], v154 offset0:13 offset1:38
	ds_load_2addr_b64 v[20:23], v154 offset0:63 offset1:88
	ds_load_2addr_b64 v[16:19], v154 offset0:113 offset1:138
	ds_load_2addr_b64 v[12:15], v154 offset0:163 offset1:188
	ds_load_2addr_b64 v[8:11], v154 offset0:213 offset1:238
	ds_load_2addr_b64 v[4:7], v4 offset0:7 offset1:32
	ds_load_b64 v[48:49], v154 offset:2504
.LBB0_5:
	s_wait_alu 0xfffe
	s_or_b32 exec_lo, exec_lo, s2
	s_wait_dscnt 0x6
	v_dual_add_f32 v53, v44, v46 :: v_dual_add_f32 v54, v45, v47
	s_wait_dscnt 0x0
	v_dual_add_f32 v55, v50, v46 :: v_dual_sub_f32 v56, v47, v51
	v_sub_f32_e32 v57, v46, v50
	s_delay_alu instid0(VALU_DEP_3) | instskip(SKIP_2) | instid1(VALU_DEP_3)
	v_dual_add_f32 v53, v53, v36 :: v_dual_add_f32 v54, v54, v37
	v_mul_lo_u16 v95, v155, 13
	v_add_co_u32 v52, null, v155, 13
	v_dual_add_f32 v46, v53, v38 :: v_dual_add_f32 v53, v54, v39
	v_dual_add_f32 v54, v51, v47 :: v_dual_mul_f32 v47, 0xbeedf032, v56
	v_mul_f32_e32 v58, 0xbeedf032, v57
	s_delay_alu instid0(VALU_DEP_3) | instskip(SKIP_2) | instid1(VALU_DEP_3)
	v_dual_add_f32 v46, v46, v28 :: v_dual_add_f32 v53, v53, v29
	v_mul_f32_e32 v61, 0xbf7e222b, v56
	v_dual_mul_f32 v59, 0xbf52af12, v56 :: v_dual_mul_f32 v60, 0xbf52af12, v57
	v_dual_add_f32 v46, v46, v30 :: v_dual_add_f32 v53, v53, v31
	v_mul_f32_e32 v62, 0xbf7e222b, v57
	v_fma_f32 v64, 0x3f62ad3f, v55, -v47
	s_delay_alu instid0(VALU_DEP_4) | instskip(NEXT) | instid1(VALU_DEP_4)
	v_fma_f32 v66, 0x3f116cb1, v55, -v59
	v_dual_add_f32 v46, v46, v24 :: v_dual_add_f32 v53, v53, v25
	v_mul_f32_e32 v63, 0xbf6f5d39, v56
	s_delay_alu instid0(VALU_DEP_4) | instskip(NEXT) | instid1(VALU_DEP_3)
	v_dual_fmamk_f32 v65, v54, 0x3f62ad3f, v58 :: v_dual_add_f32 v64, v44, v64
	v_dual_add_f32 v46, v46, v26 :: v_dual_fmac_f32 v47, 0x3f62ad3f, v55
	v_fma_f32 v58, 0x3f62ad3f, v54, -v58
	v_fma_f32 v68, 0x3df6dbef, v55, -v61
	v_mul_f32_e32 v72, 0xbf29c268, v57
	s_delay_alu instid0(VALU_DEP_4) | instskip(SKIP_2) | instid1(VALU_DEP_3)
	v_dual_add_f32 v46, v46, v32 :: v_dual_add_f32 v53, v53, v27
	v_dual_fmamk_f32 v67, v54, 0x3f116cb1, v60 :: v_dual_add_f32 v70, v44, v47
	v_fmamk_f32 v69, v54, 0x3df6dbef, v62
	v_dual_add_f32 v46, v46, v34 :: v_dual_add_f32 v53, v53, v33
	v_fmac_f32_e32 v59, 0x3f116cb1, v55
	v_fma_f32 v60, 0x3f116cb1, v54, -v60
	s_delay_alu instid0(VALU_DEP_3) | instskip(NEXT) | instid1(VALU_DEP_4)
	v_dual_add_f32 v46, v46, v40 :: v_dual_and_b32 v95, 0xffff, v95
	v_add_f32_e32 v53, v53, v35
	v_mul_u32_u24_e32 v157, 13, v52
	global_wb scope:SCOPE_SE
	v_lshl_add_u32 v159, v95, 3, v156
	v_dual_add_f32 v46, v46, v42 :: v_dual_add_f32 v47, v53, v41
	v_dual_fmamk_f32 v74, v54, 0xbf3f9e67, v72 :: v_dual_add_f32 v65, v45, v65
	v_add_f32_e32 v53, v45, v58
	v_add_f32_e32 v58, v44, v66
	;; [unrolled: 1-line block ×3, first 2 shown]
	v_dual_add_f32 v47, v47, v43 :: v_dual_add_f32 v60, v45, v60
	v_dual_add_f32 v59, v44, v59 :: v_dual_add_f32 v46, v46, v50
	v_dual_fmac_f32 v61, 0x3df6dbef, v55 :: v_dual_add_f32 v74, v45, v74
	v_fma_f32 v50, 0x3df6dbef, v54, -v62
	v_dual_add_f32 v67, v44, v68 :: v_dual_add_f32 v62, v45, v69
	v_mul_f32_e32 v68, 0xbf6f5d39, v57
	v_dual_mul_f32 v69, 0xbf29c268, v56 :: v_dual_sub_f32 v76, v37, v43
	v_dual_add_f32 v61, v44, v61 :: v_dual_mul_f32 v56, 0xbe750f2a, v56
	s_delay_alu instid0(VALU_DEP_3)
	v_fmamk_f32 v71, v54, 0xbeb58ec6, v68
	v_fma_f32 v68, 0xbeb58ec6, v54, -v68
	v_add_f32_e32 v47, v47, v51
	v_fma_f32 v51, 0xbeb58ec6, v55, -v63
	v_dual_fmac_f32 v63, 0xbeb58ec6, v55 :: v_dual_add_f32 v78, v42, v36
	v_fma_f32 v73, 0xbf3f9e67, v55, -v69
	v_sub_f32_e32 v36, v36, v42
	v_dual_add_f32 v50, v45, v50 :: v_dual_mul_f32 v57, 0xbe750f2a, v57
	v_fma_f32 v75, 0xbf788fa5, v55, -v56
	s_delay_alu instid0(VALU_DEP_4)
	v_dual_add_f32 v73, v44, v73 :: v_dual_fmac_f32 v56, 0xbf788fa5, v55
	v_fmac_f32_e32 v69, 0xbf3f9e67, v55
	v_add_f32_e32 v37, v43, v37
	v_mul_f32_e32 v43, 0xbf52af12, v36
	v_add_f32_e32 v71, v45, v71
	v_fma_f32 v72, 0xbf3f9e67, v54, -v72
	v_add_f32_e32 v51, v44, v51
	v_add_f32_e32 v69, v44, v69
	;; [unrolled: 1-line block ×3, first 2 shown]
	v_mul_f32_e32 v79, 0xbf52af12, v76
	v_fma_f32 v42, 0xbf788fa5, v54, -v57
	v_add_f32_e32 v63, v44, v63
	v_dual_add_f32 v44, v44, v56 :: v_dual_fmamk_f32 v55, v37, 0x3f116cb1, v43
	v_fma_f32 v43, 0x3f116cb1, v37, -v43
	v_mul_f32_e32 v56, 0xbf6f5d39, v36
	v_add_f32_e32 v68, v45, v68
	v_add_f32_e32 v72, v45, v72
	s_delay_alu instid0(VALU_DEP_4) | instskip(NEXT) | instid1(VALU_DEP_4)
	v_dual_add_f32 v42, v45, v42 :: v_dual_add_f32 v43, v43, v53
	v_fmamk_f32 v53, v37, 0xbeb58ec6, v56
	v_fma_f32 v56, 0xbeb58ec6, v37, -v56
	v_fmamk_f32 v77, v54, 0xbf788fa5, v57
	v_fma_f32 v54, 0x3f116cb1, v78, -v79
	v_add_f32_e32 v55, v55, v65
	v_mul_f32_e32 v65, 0xbe750f2a, v36
	s_delay_alu instid0(VALU_DEP_4) | instskip(NEXT) | instid1(VALU_DEP_4)
	v_dual_add_f32 v56, v56, v60 :: v_dual_add_f32 v77, v45, v77
	v_add_f32_e32 v45, v54, v64
	v_mul_f32_e32 v54, 0xbf6f5d39, v76
	s_wait_kmcnt 0x0
	s_barrier_signal -1
	s_barrier_wait -1
	global_inv scope:SCOPE_SE
	v_fma_f32 v57, 0xbeb58ec6, v78, -v54
	v_fmac_f32_e32 v54, 0xbeb58ec6, v78
	v_fmamk_f32 v60, v37, 0xbf788fa5, v65
	v_fma_f32 v65, 0xbf788fa5, v37, -v65
	s_delay_alu instid0(VALU_DEP_4) | instskip(NEXT) | instid1(VALU_DEP_3)
	v_dual_add_f32 v57, v57, v58 :: v_dual_mul_f32 v58, 0xbe750f2a, v76
	v_add_f32_e32 v60, v60, v62
	v_mul_f32_e32 v62, 0x3f29c268, v36
	v_dual_add_f32 v54, v54, v59 :: v_dual_mul_f32 v59, 0x3f29c268, v76
	v_add_f32_e32 v50, v65, v50
	s_delay_alu instid0(VALU_DEP_3) | instskip(SKIP_1) | instid1(VALU_DEP_1)
	v_fmamk_f32 v65, v37, 0xbf3f9e67, v62
	v_fma_f32 v62, 0xbf3f9e67, v37, -v62
	v_dual_add_f32 v62, v62, v68 :: v_dual_add_f32 v53, v53, v66
	v_fma_f32 v66, 0xbf788fa5, v78, -v58
	v_fmac_f32_e32 v58, 0xbf788fa5, v78
	s_delay_alu instid0(VALU_DEP_2) | instskip(NEXT) | instid1(VALU_DEP_2)
	v_dual_fmac_f32 v79, 0x3f116cb1, v78 :: v_dual_add_f32 v66, v66, v67
	v_add_f32_e32 v58, v58, v61
	v_fma_f32 v67, 0xbf3f9e67, v78, -v59
	s_delay_alu instid0(VALU_DEP_3) | instskip(SKIP_1) | instid1(VALU_DEP_3)
	v_dual_mul_f32 v61, 0x3f7e222b, v76 :: v_dual_add_f32 v64, v79, v70
	v_fmac_f32_e32 v59, 0xbf3f9e67, v78
	v_add_f32_e32 v51, v67, v51
	v_mul_f32_e32 v67, 0x3f7e222b, v36
	s_delay_alu instid0(VALU_DEP_4) | instskip(SKIP_1) | instid1(VALU_DEP_1)
	v_fma_f32 v70, 0x3df6dbef, v78, -v61
	v_mul_f32_e32 v36, 0x3eedf032, v36
	v_dual_add_f32 v68, v70, v73 :: v_dual_fmamk_f32 v73, v37, 0x3f62ad3f, v36
	v_fma_f32 v36, 0x3f62ad3f, v37, -v36
	v_dual_mul_f32 v70, 0x3eedf032, v76 :: v_dual_add_f32 v59, v59, v63
	s_delay_alu instid0(VALU_DEP_2) | instskip(SKIP_1) | instid1(VALU_DEP_1)
	v_add_f32_e32 v36, v36, v42
	v_fmac_f32_e32 v61, 0x3df6dbef, v78
	v_add_f32_e32 v61, v61, v69
	v_sub_f32_e32 v69, v39, v41
	v_add_f32_e32 v39, v41, v39
	v_fmamk_f32 v63, v37, 0x3df6dbef, v67
	v_fma_f32 v67, 0x3df6dbef, v37, -v67
	s_delay_alu instid0(VALU_DEP_1) | instskip(SKIP_4) | instid1(VALU_DEP_1)
	v_dual_mul_f32 v42, 0xbe750f2a, v69 :: v_dual_add_f32 v67, v67, v72
	v_add_f32_e32 v72, v40, v38
	v_dual_sub_f32 v38, v38, v40 :: v_dual_add_f32 v65, v65, v71
	v_fma_f32 v71, 0x3f62ad3f, v78, -v70
	v_fmac_f32_e32 v70, 0x3f62ad3f, v78
	v_dual_mul_f32 v40, 0xbf7e222b, v38 :: v_dual_add_f32 v41, v70, v44
	v_fma_f32 v70, 0xbf788fa5, v72, -v42
	s_delay_alu instid0(VALU_DEP_2) | instskip(SKIP_2) | instid1(VALU_DEP_3)
	v_fmamk_f32 v44, v39, 0x3df6dbef, v40
	v_dual_add_f32 v63, v63, v74 :: v_dual_fmac_f32 v42, 0xbf788fa5, v72
	v_mul_f32_e32 v74, 0xbf7e222b, v69
	v_dual_add_f32 v57, v70, v57 :: v_dual_add_f32 v44, v44, v55
	s_delay_alu instid0(VALU_DEP_3) | instskip(SKIP_1) | instid1(VALU_DEP_4)
	v_dual_add_f32 v71, v71, v75 :: v_dual_add_f32 v42, v42, v54
	v_mul_f32_e32 v54, 0x3eedf032, v69
	v_fma_f32 v37, 0x3df6dbef, v72, -v74
	v_fmac_f32_e32 v74, 0x3df6dbef, v72
	s_delay_alu instid0(VALU_DEP_1) | instskip(NEXT) | instid1(VALU_DEP_3)
	v_dual_add_f32 v55, v74, v64 :: v_dual_mul_f32 v64, 0x3f6f5d39, v69
	v_add_f32_e32 v37, v37, v45
	v_mul_f32_e32 v45, 0xbe750f2a, v38
	s_delay_alu instid0(VALU_DEP_3) | instskip(SKIP_1) | instid1(VALU_DEP_2)
	v_fma_f32 v70, 0xbeb58ec6, v72, -v64
	v_fmac_f32_e32 v64, 0xbeb58ec6, v72
	v_add_f32_e32 v66, v70, v66
	v_fma_f32 v40, 0x3df6dbef, v39, -v40
	s_delay_alu instid0(VALU_DEP_3) | instskip(SKIP_2) | instid1(VALU_DEP_4)
	v_add_f32_e32 v58, v64, v58
	v_fma_f32 v70, 0x3f62ad3f, v72, -v54
	v_fmac_f32_e32 v54, 0x3f62ad3f, v72
	v_dual_add_f32 v40, v40, v43 :: v_dual_fmamk_f32 v43, v39, 0xbf788fa5, v45
	v_fma_f32 v45, 0xbf788fa5, v39, -v45
	s_delay_alu instid0(VALU_DEP_2) | instskip(SKIP_2) | instid1(VALU_DEP_2)
	v_dual_add_f32 v54, v54, v59 :: v_dual_add_f32 v43, v43, v53
	v_mul_f32_e32 v53, 0x3f6f5d39, v38
	v_add_f32_e32 v73, v73, v77
	v_dual_add_f32 v45, v45, v56 :: v_dual_fmamk_f32 v56, v39, 0xbeb58ec6, v53
	s_delay_alu instid0(VALU_DEP_1) | instskip(SKIP_1) | instid1(VALU_DEP_1)
	v_add_f32_e32 v56, v56, v60
	v_mul_f32_e32 v60, 0x3eedf032, v38
	v_fmamk_f32 v64, v39, 0x3f62ad3f, v60
	v_fma_f32 v60, 0x3f62ad3f, v39, -v60
	v_dual_add_f32 v51, v70, v51 :: v_dual_mul_f32 v70, 0xbf52af12, v38
	v_mul_f32_e32 v38, 0xbf29c268, v38
	s_delay_alu instid0(VALU_DEP_4) | instskip(NEXT) | instid1(VALU_DEP_4)
	v_add_f32_e32 v64, v64, v65
	v_add_f32_e32 v60, v60, v62
	v_fma_f32 v53, 0xbeb58ec6, v39, -v53
	s_delay_alu instid0(VALU_DEP_1) | instskip(SKIP_2) | instid1(VALU_DEP_2)
	v_dual_mul_f32 v65, 0xbf29c268, v69 :: v_dual_add_f32 v50, v53, v50
	v_mul_f32_e32 v53, 0xbf52af12, v69
	v_fmamk_f32 v69, v39, 0xbf3f9e67, v38
	v_fma_f32 v74, 0x3f116cb1, v72, -v53
	v_fmamk_f32 v59, v39, 0x3f116cb1, v70
	v_fmac_f32_e32 v53, 0x3f116cb1, v72
	s_delay_alu instid0(VALU_DEP_2) | instskip(SKIP_2) | instid1(VALU_DEP_2)
	v_dual_add_f32 v62, v74, v68 :: v_dual_add_f32 v59, v59, v63
	v_fma_f32 v63, 0x3f116cb1, v39, -v70
	v_fma_f32 v68, 0xbf3f9e67, v72, -v65
	v_add_f32_e32 v63, v63, v67
	s_delay_alu instid0(VALU_DEP_2)
	v_dual_add_f32 v67, v68, v71 :: v_dual_add_f32 v68, v34, v28
	v_sub_f32_e32 v28, v28, v34
	v_fma_f32 v34, 0xbf3f9e67, v39, -v38
	v_add_f32_e32 v53, v53, v61
	v_sub_f32_e32 v61, v29, v35
	v_add_f32_e32 v29, v35, v29
	v_mul_f32_e32 v35, 0xbf6f5d39, v28
	v_add_f32_e32 v34, v34, v36
	s_delay_alu instid0(VALU_DEP_4) | instskip(NEXT) | instid1(VALU_DEP_1)
	v_mul_f32_e32 v70, 0xbf6f5d39, v61
	v_fma_f32 v38, 0xbeb58ec6, v68, -v70
	v_fmac_f32_e32 v70, 0xbeb58ec6, v68
	s_delay_alu instid0(VALU_DEP_2) | instskip(SKIP_2) | instid1(VALU_DEP_2)
	v_dual_fmac_f32 v65, 0xbf3f9e67, v72 :: v_dual_add_f32 v36, v38, v37
	v_fmamk_f32 v38, v29, 0xbeb58ec6, v35
	v_fma_f32 v35, 0xbeb58ec6, v29, -v35
	v_dual_mul_f32 v37, 0x3f29c268, v61 :: v_dual_add_f32 v38, v38, v44
	v_dual_add_f32 v69, v69, v73 :: v_dual_add_f32 v44, v70, v55
	v_add_f32_e32 v39, v65, v41
	v_mul_f32_e32 v41, 0x3f29c268, v28
	v_add_f32_e32 v35, v35, v40
	v_fma_f32 v65, 0xbf3f9e67, v68, -v37
	s_delay_alu instid0(VALU_DEP_3) | instskip(NEXT) | instid1(VALU_DEP_2)
	v_fmamk_f32 v40, v29, 0xbf3f9e67, v41
	v_add_f32_e32 v55, v65, v57
	s_delay_alu instid0(VALU_DEP_2) | instskip(SKIP_2) | instid1(VALU_DEP_3)
	v_dual_mul_f32 v57, 0x3eedf032, v61 :: v_dual_add_f32 v40, v40, v43
	v_fma_f32 v41, 0xbf3f9e67, v29, -v41
	v_mul_f32_e32 v43, 0x3eedf032, v28
	v_fma_f32 v65, 0x3f62ad3f, v68, -v57
	v_fmac_f32_e32 v57, 0x3f62ad3f, v68
	s_delay_alu instid0(VALU_DEP_4) | instskip(NEXT) | instid1(VALU_DEP_4)
	v_add_f32_e32 v41, v41, v45
	v_fmamk_f32 v45, v29, 0x3f62ad3f, v43
	v_fma_f32 v43, 0x3f62ad3f, v29, -v43
	s_delay_alu instid0(VALU_DEP_4) | instskip(SKIP_1) | instid1(VALU_DEP_4)
	v_add_f32_e32 v57, v57, v58
	v_add_f32_e32 v65, v65, v66
	;; [unrolled: 1-line block ×3, first 2 shown]
	s_delay_alu instid0(VALU_DEP_4) | instskip(NEXT) | instid1(VALU_DEP_1)
	v_dual_mul_f32 v56, 0xbf7e222b, v28 :: v_dual_add_f32 v43, v43, v50
	v_fmamk_f32 v58, v29, 0x3df6dbef, v56
	v_fma_f32 v56, 0x3df6dbef, v29, -v56
	s_delay_alu instid0(VALU_DEP_2) | instskip(SKIP_1) | instid1(VALU_DEP_1)
	v_add_f32_e32 v58, v58, v64
	v_fmac_f32_e32 v37, 0xbf3f9e67, v68
	v_dual_add_f32 v56, v56, v60 :: v_dual_add_f32 v37, v37, v42
	v_mul_f32_e32 v42, 0xbf7e222b, v61
	s_delay_alu instid0(VALU_DEP_1) | instskip(SKIP_1) | instid1(VALU_DEP_2)
	v_fma_f32 v66, 0x3df6dbef, v68, -v42
	v_fmac_f32_e32 v42, 0x3df6dbef, v68
	v_add_f32_e32 v50, v66, v51
	v_mul_f32_e32 v66, 0x3e750f2a, v28
	v_mul_f32_e32 v28, 0x3f52af12, v28
	s_delay_alu instid0(VALU_DEP_4) | instskip(NEXT) | instid1(VALU_DEP_2)
	v_add_f32_e32 v42, v42, v54
	v_fmamk_f32 v64, v29, 0x3f116cb1, v28
	v_fma_f32 v28, 0x3f116cb1, v29, -v28
	s_delay_alu instid0(VALU_DEP_1) | instskip(SKIP_1) | instid1(VALU_DEP_2)
	v_dual_mul_f32 v51, 0x3e750f2a, v61 :: v_dual_add_f32 v28, v28, v34
	v_fmamk_f32 v54, v29, 0xbf788fa5, v66
	v_fma_f32 v70, 0xbf788fa5, v68, -v51
	s_delay_alu instid0(VALU_DEP_2) | instskip(SKIP_1) | instid1(VALU_DEP_1)
	v_dual_fmac_f32 v51, 0xbf788fa5, v68 :: v_dual_add_f32 v54, v54, v59
	v_fma_f32 v59, 0xbf788fa5, v29, -v66
	v_dual_add_f32 v60, v70, v62 :: v_dual_add_f32 v59, v59, v63
	v_dual_add_f32 v63, v32, v30 :: v_dual_sub_f32 v30, v30, v32
	s_delay_alu instid0(VALU_DEP_4) | instskip(SKIP_2) | instid1(VALU_DEP_4)
	v_add_f32_e32 v51, v51, v53
	v_sub_f32_e32 v53, v31, v33
	v_add_f32_e32 v64, v64, v69
	v_mul_f32_e32 v32, 0xbf29c268, v30
	s_delay_alu instid0(VALU_DEP_3) | instskip(NEXT) | instid1(VALU_DEP_1)
	v_mul_f32_e32 v66, 0xbf29c268, v53
	v_fma_f32 v29, 0xbf3f9e67, v63, -v66
	v_fmac_f32_e32 v66, 0xbf3f9e67, v63
	v_dual_add_f32 v31, v33, v31 :: v_dual_mul_f32 v34, 0x3f7e222b, v53
	s_delay_alu instid0(VALU_DEP_1) | instskip(NEXT) | instid1(VALU_DEP_1)
	v_dual_add_f32 v29, v29, v36 :: v_dual_fmamk_f32 v36, v31, 0xbf3f9e67, v32
	v_dual_mul_f32 v61, 0x3f52af12, v61 :: v_dual_add_f32 v36, v36, v38
	s_delay_alu instid0(VALU_DEP_1) | instskip(SKIP_2) | instid1(VALU_DEP_3)
	v_fma_f32 v62, 0x3f116cb1, v68, -v61
	v_add_f32_e32 v38, v66, v44
	v_fma_f32 v32, 0xbf3f9e67, v31, -v32
	v_dual_fmac_f32 v61, 0x3f116cb1, v68 :: v_dual_add_f32 v62, v62, v67
	s_delay_alu instid0(VALU_DEP_2) | instskip(NEXT) | instid1(VALU_DEP_2)
	v_add_f32_e32 v32, v32, v35
	v_add_f32_e32 v33, v61, v39
	v_fma_f32 v61, 0x3df6dbef, v63, -v34
	v_mul_f32_e32 v39, 0x3f7e222b, v30
	v_fmac_f32_e32 v34, 0x3df6dbef, v63
	s_delay_alu instid0(VALU_DEP_2) | instskip(SKIP_1) | instid1(VALU_DEP_2)
	v_dual_add_f32 v44, v61, v55 :: v_dual_fmamk_f32 v35, v31, 0x3df6dbef, v39
	v_fma_f32 v39, 0x3df6dbef, v31, -v39
	v_dual_add_f32 v34, v34, v37 :: v_dual_add_f32 v35, v35, v40
	s_delay_alu instid0(VALU_DEP_2) | instskip(SKIP_1) | instid1(VALU_DEP_2)
	v_dual_mul_f32 v40, 0xbf52af12, v30 :: v_dual_add_f32 v37, v39, v41
	v_mul_f32_e32 v39, 0x3e750f2a, v53
	v_fmamk_f32 v41, v31, 0x3f116cb1, v40
	v_fma_f32 v40, 0x3f116cb1, v31, -v40
	s_delay_alu instid0(VALU_DEP_1) | instskip(NEXT) | instid1(VALU_DEP_1)
	v_dual_mul_f32 v55, 0xbf52af12, v53 :: v_dual_add_f32 v40, v40, v43
	v_fma_f32 v61, 0x3f116cb1, v63, -v55
	v_fmac_f32_e32 v55, 0x3f116cb1, v63
	s_delay_alu instid0(VALU_DEP_2) | instskip(SKIP_2) | instid1(VALU_DEP_2)
	v_add_f32_e32 v61, v61, v65
	v_fma_f32 v65, 0xbf788fa5, v63, -v39
	v_fmac_f32_e32 v39, 0xbf788fa5, v63
	v_dual_add_f32 v43, v65, v50 :: v_dual_mul_f32 v50, 0x3eedf032, v53
	v_add_f32_e32 v55, v55, v57
	v_mul_f32_e32 v65, 0x3eedf032, v30
	v_mul_f32_e32 v53, 0xbf6f5d39, v53
	s_delay_alu instid0(VALU_DEP_4) | instskip(SKIP_1) | instid1(VALU_DEP_1)
	v_fma_f32 v66, 0x3f62ad3f, v63, -v50
	v_fmac_f32_e32 v50, 0x3f62ad3f, v63
	v_dual_add_f32 v50, v50, v51 :: v_dual_add_f32 v41, v41, v45
	v_mul_f32_e32 v45, 0x3e750f2a, v30
	v_dual_mul_f32 v30, 0xbf6f5d39, v30 :: v_dual_sub_f32 v51, v25, v27
	v_add_f32_e32 v39, v39, v42
	s_delay_alu instid0(VALU_DEP_3) | instskip(SKIP_1) | instid1(VALU_DEP_1)
	v_fmamk_f32 v57, v31, 0xbf788fa5, v45
	v_fma_f32 v45, 0xbf788fa5, v31, -v45
	v_dual_add_f32 v42, v45, v56 :: v_dual_fmamk_f32 v45, v31, 0x3f62ad3f, v65
	v_add_f32_e32 v56, v66, v60
	v_fmamk_f32 v60, v31, 0xbeb58ec6, v30
	v_sub_f32_e32 v66, v12, v14
	s_delay_alu instid0(VALU_DEP_4) | instskip(SKIP_2) | instid1(VALU_DEP_2)
	v_add_f32_e32 v45, v45, v54
	v_fma_f32 v54, 0x3f62ad3f, v31, -v65
	v_sub_f32_e32 v65, v18, v8
	v_dual_add_f32 v54, v54, v59 :: v_dual_add_f32 v59, v60, v64
	v_add_f32_e32 v60, v26, v24
	v_sub_f32_e32 v26, v24, v26
	v_fma_f32 v24, 0xbeb58ec6, v31, -v30
	v_sub_f32_e32 v64, v16, v10
	s_delay_alu instid0(VALU_DEP_3)
	v_mul_f32_e32 v30, 0xbe750f2a, v26
	v_add_f32_e32 v57, v57, v58
	v_fma_f32 v58, 0xbeb58ec6, v63, -v53
	v_add_f32_e32 v88, v24, v28
	v_dual_mul_f32 v28, 0x3eedf032, v51 :: v_dual_add_f32 v27, v27, v25
	v_mul_f32_e32 v31, 0x3eedf032, v26
	s_delay_alu instid0(VALU_DEP_4) | instskip(SKIP_2) | instid1(VALU_DEP_2)
	v_add_f32_e32 v58, v58, v62
	v_mul_f32_e32 v62, 0xbe750f2a, v51
	v_mul_f32_e32 v89, 0x3f7e222b, v51
	v_fma_f32 v25, 0xbf788fa5, v60, -v62
	v_fmac_f32_e32 v62, 0xbf788fa5, v60
	s_delay_alu instid0(VALU_DEP_2) | instskip(SKIP_3) | instid1(VALU_DEP_3)
	v_dual_add_f32 v24, v25, v29 :: v_dual_fmamk_f32 v25, v27, 0xbf788fa5, v30
	v_fma_f32 v29, 0xbf788fa5, v27, -v30
	v_fma_f32 v30, 0x3f62ad3f, v60, -v28
	v_fmac_f32_e32 v28, 0x3f62ad3f, v60
	v_add_f32_e32 v68, v29, v32
	s_delay_alu instid0(VALU_DEP_3)
	v_add_f32_e32 v69, v30, v44
	v_fmamk_f32 v29, v27, 0x3f62ad3f, v31
	v_mul_f32_e32 v30, 0xbf29c268, v51
	v_fma_f32 v31, 0x3f62ad3f, v27, -v31
	v_fmac_f32_e32 v53, 0xbeb58ec6, v63
	v_mul_f32_e32 v32, 0xbf29c268, v26
	v_add_f32_e32 v70, v29, v35
	v_fma_f32 v29, 0xbf3f9e67, v60, -v30
	v_add_f32_e32 v72, v31, v37
	v_add_f32_e32 v87, v53, v33
	;; [unrolled: 1-line block ×3, first 2 shown]
	v_dual_add_f32 v67, v62, v38 :: v_dual_fmac_f32 v30, 0xbf3f9e67, v60
	v_add_f32_e32 v73, v29, v61
	v_fma_f32 v29, 0xbf3f9e67, v27, -v32
	v_dual_add_f32 v71, v28, v34 :: v_dual_fmamk_f32 v28, v27, 0xbf3f9e67, v32
	v_mul_f32_e32 v32, 0x3f52af12, v26
	v_mul_f32_e32 v33, 0xbf6f5d39, v26
	s_delay_alu instid0(VALU_DEP_4) | instskip(NEXT) | instid1(VALU_DEP_4)
	v_dual_add_f32 v75, v30, v55 :: v_dual_add_f32 v76, v29, v40
	v_add_f32_e32 v74, v28, v41
	s_delay_alu instid0(VALU_DEP_4) | instskip(SKIP_3) | instid1(VALU_DEP_4)
	v_fma_f32 v30, 0x3f116cb1, v27, -v32
	v_mul_f32_e32 v31, 0x3f52af12, v51
	v_dual_sub_f32 v61, v2, v48 :: v_dual_sub_f32 v62, v20, v6
	v_sub_f32_e32 v63, v22, v4
	v_add_f32_e32 v80, v30, v42
	s_delay_alu instid0(VALU_DEP_4)
	v_fma_f32 v28, 0x3f116cb1, v60, -v31
	v_mul_f32_e32 v30, 0x3f7e222b, v26
	v_fma_f32 v26, 0xbeb58ec6, v27, -v33
	v_fmac_f32_e32 v31, 0x3f116cb1, v60
	v_mul_f32_e32 v53, 0xbf52af12, v62
	v_dual_add_f32 v77, v28, v43 :: v_dual_fmamk_f32 v28, v27, 0x3f116cb1, v32
	s_delay_alu instid0(VALU_DEP_3) | instskip(SKIP_1) | instid1(VALU_DEP_3)
	v_dual_add_f32 v84, v26, v54 :: v_dual_add_f32 v79, v31, v39
	v_dual_add_f32 v26, v48, v2 :: v_dual_fmamk_f32 v31, v27, 0x3df6dbef, v30
	v_add_f32_e32 v78, v28, v57
	v_sub_f32_e32 v55, v3, v49
	v_fma_f32 v90, 0x3df6dbef, v27, -v30
	v_mul_f32_e32 v54, 0xbe750f2a, v66
	v_add_f32_e32 v86, v31, v59
	v_fmamk_f32 v28, v27, 0xbeb58ec6, v33
	v_mul_f32_e32 v29, 0xbf6f5d39, v51
	v_dual_mul_f32 v38, 0xbeedf032, v55 :: v_dual_add_f32 v27, v6, v20
	s_delay_alu instid0(VALU_DEP_3) | instskip(NEXT) | instid1(VALU_DEP_3)
	v_dual_sub_f32 v59, v17, v11 :: v_dual_add_f32 v82, v28, v45
	v_fma_f32 v32, 0xbeb58ec6, v60, -v29
	v_fmac_f32_e32 v29, 0xbeb58ec6, v60
	v_fma_f32 v28, 0x3df6dbef, v60, -v89
	v_fmamk_f32 v30, v26, 0x3f62ad3f, v38
	v_mul_f32_e32 v45, 0xbf6f5d39, v64
	v_dual_add_f32 v81, v32, v56 :: v_dual_sub_f32 v56, v13, v15
	s_delay_alu instid0(VALU_DEP_4)
	v_dual_add_f32 v85, v28, v58 :: v_dual_sub_f32 v58, v23, v5
	v_add_f32_e32 v28, v7, v21
	v_add_f32_e32 v32, v30, v0
	v_add_f32_e32 v30, v4, v22
	v_dual_add_f32 v83, v29, v50 :: v_dual_mul_f32 v50, 0xbeedf032, v61
	v_dual_add_f32 v29, v49, v3 :: v_dual_mul_f32 v40, 0xbf7e222b, v58
	v_sub_f32_e32 v57, v21, v7
	v_fma_f32 v34, 0x3f116cb1, v28, -v53
	v_mul_f32_e32 v51, 0xbf29c268, v65
	s_delay_alu instid0(VALU_DEP_4)
	v_fma_f32 v31, 0x3f62ad3f, v29, -v50
	v_fmamk_f32 v36, v30, 0x3df6dbef, v40
	v_dual_mul_f32 v39, 0xbf52af12, v57 :: v_dual_add_f32 v88, v90, v88
	ds_store_2addr_b64 v159, v[46:47], v[24:25] offset1:1
	ds_store_2addr_b64 v159, v[69:70], v[73:74] offset0:2 offset1:3
	v_add_f32_e32 v33, v31, v1
	v_fmac_f32_e32 v89, 0x3df6dbef, v60
	v_fmamk_f32 v31, v27, 0x3f116cb1, v39
	v_sub_f32_e32 v60, v19, v9
	s_delay_alu instid0(VALU_DEP_4) | instskip(SKIP_1) | instid1(VALU_DEP_4)
	v_add_f32_e32 v34, v34, v33
	v_add_f32_e32 v33, v11, v17
	v_add_f32_e32 v35, v31, v32
	s_delay_alu instid0(VALU_DEP_4) | instskip(SKIP_1) | instid1(VALU_DEP_4)
	v_dual_add_f32 v31, v5, v23 :: v_dual_mul_f32 v42, 0xbf29c268, v60
	v_add_f32_e32 v32, v10, v16
	v_fma_f32 v44, 0xbeb58ec6, v33, -v45
	v_mul_f32_e32 v43, 0xbf7e222b, v63
	v_add_f32_e32 v35, v36, v35
	v_add_f32_e32 v87, v89, v87
	ds_store_2addr_b64 v159, v[77:78], v[81:82] offset0:4 offset1:5
	ds_store_2addr_b64 v159, v[85:86], v[87:88] offset0:6 offset1:7
	;; [unrolled: 1-line block ×4, first 2 shown]
	ds_store_b64 v159, v[67:68] offset:96
	v_fma_f32 v37, 0x3df6dbef, v31, -v43
	s_delay_alu instid0(VALU_DEP_1) | instskip(SKIP_1) | instid1(VALU_DEP_2)
	v_add_f32_e32 v36, v37, v34
	v_add_f32_e32 v34, v8, v18
	;; [unrolled: 1-line block ×3, first 2 shown]
	v_dual_add_f32 v36, v14, v12 :: v_dual_mul_f32 v41, 0xbf6f5d39, v59
	s_delay_alu instid0(VALU_DEP_3) | instskip(SKIP_1) | instid1(VALU_DEP_3)
	v_fmamk_f32 v93, v34, 0xbf3f9e67, v42
	v_mul_f32_e32 v44, 0xbe750f2a, v56
	v_fmamk_f32 v37, v32, 0xbeb58ec6, v41
	s_delay_alu instid0(VALU_DEP_1) | instskip(SKIP_2) | instid1(VALU_DEP_2)
	v_add_f32_e32 v91, v37, v35
	v_add_f32_e32 v35, v9, v19
	;; [unrolled: 1-line block ×3, first 2 shown]
	v_fma_f32 v94, 0xbf3f9e67, v35, -v51
	s_delay_alu instid0(VALU_DEP_1) | instskip(NEXT) | instid1(VALU_DEP_3)
	v_add_f32_e32 v92, v94, v92
	v_fma_f32 v94, 0xbf788fa5, v37, -v54
	s_delay_alu instid0(VALU_DEP_1) | instskip(SKIP_1) | instid1(VALU_DEP_1)
	v_dual_add_f32 v150, v94, v92 :: v_dual_add_f32 v91, v93, v91
	v_fmamk_f32 v93, v36, 0xbf788fa5, v44
	v_add_f32_e32 v149, v93, v91
	s_and_saveexec_b32 s2, vcc_lo
	s_cbranch_execz .LBB0_7
; %bb.6:
	v_mul_f32_e32 v73, 0x3eedf032, v62
	v_mul_f32_e32 v76, 0xbf29c268, v63
	v_dual_mul_f32 v80, 0x3f52af12, v64 :: v_dual_mul_f32 v91, 0x3f52af12, v59
	v_dual_mul_f32 v90, 0xbf29c268, v61 :: v_dual_mul_f32 v97, 0xbf29c268, v55
	s_delay_alu instid0(VALU_DEP_4) | instskip(SKIP_4) | instid1(VALU_DEP_4)
	v_fmamk_f32 v25, v28, 0x3f62ad3f, v73
	v_mul_f32_e32 v69, 0xbe750f2a, v61
	v_dual_fmamk_f32 v46, v31, 0xbf3f9e67, v76 :: v_dual_mul_f32 v81, 0xbf3f9e67, v34
	v_mul_f32_e32 v85, 0xbf788fa5, v36
	v_mul_f32_e32 v72, 0x3f116cb1, v27
	v_fmamk_f32 v24, v29, 0xbf788fa5, v69
	v_dual_mul_f32 v82, 0xbf3f9e67, v35 :: v_dual_fmamk_f32 v67, v29, 0xbf3f9e67, v90
	v_dual_mul_f32 v84, 0xbf6f5d39, v65 :: v_dual_mul_f32 v93, 0xbf6f5d39, v60
	s_delay_alu instid0(VALU_DEP_3) | instskip(SKIP_1) | instid1(VALU_DEP_4)
	v_add_f32_e32 v24, v24, v1
	v_mul_f32_e32 v92, 0x3f7e222b, v62
	v_dual_mul_f32 v88, 0xbf29c268, v58 :: v_dual_add_f32 v67, v67, v1
	s_delay_alu instid0(VALU_DEP_4) | instskip(NEXT) | instid1(VALU_DEP_4)
	v_fma_f32 v95, 0xbeb58ec6, v34, -v93
	v_dual_add_f32 v24, v25, v24 :: v_dual_mul_f32 v75, 0x3df6dbef, v30
	v_fmamk_f32 v25, v33, 0x3f116cb1, v80
	v_fmamk_f32 v68, v28, 0x3df6dbef, v92
	s_delay_alu instid0(VALU_DEP_3) | instskip(SKIP_3) | instid1(VALU_DEP_4)
	v_dual_mul_f32 v103, 0xbf6f5d39, v61 :: v_dual_add_f32 v24, v46, v24
	v_mul_f32_e32 v77, 0x3df6dbef, v31
	v_mul_f32_e32 v99, 0x3eedf032, v65
	;; [unrolled: 1-line block ×3, first 2 shown]
	v_fmamk_f32 v105, v29, 0xbeb58ec6, v103
	v_dual_add_f32 v24, v25, v24 :: v_dual_fmamk_f32 v25, v35, 0xbeb58ec6, v84
	v_mul_f32_e32 v83, 0xbe750f2a, v55
	s_delay_alu instid0(VALU_DEP_3) | instskip(SKIP_1) | instid1(VALU_DEP_4)
	v_dual_mul_f32 v94, 0xbf52af12, v63 :: v_dual_add_f32 v105, v105, v1
	v_dual_mul_f32 v151, 0xbe750f2a, v62 :: v_dual_mul_f32 v164, 0xbe750f2a, v57
	v_add_f32_e32 v24, v25, v24
	s_delay_alu instid0(VALU_DEP_4) | instskip(SKIP_1) | instid1(VALU_DEP_4)
	v_fma_f32 v46, 0xbf788fa5, v26, -v83
	v_mul_f32_e32 v86, 0x3eedf032, v57
	v_fmamk_f32 v158, v28, 0xbf788fa5, v151
	v_fmamk_f32 v108, v28, 0xbf3f9e67, v106
	s_delay_alu instid0(VALU_DEP_4) | instskip(NEXT) | instid1(VALU_DEP_4)
	v_dual_fmamk_f32 v101, v35, 0x3f62ad3f, v99 :: v_dual_add_f32 v46, v46, v0
	v_fma_f32 v47, 0x3f62ad3f, v27, -v86
	v_mul_f32_e32 v74, 0x3f116cb1, v28
	v_mul_f32_e32 v96, 0x3e750f2a, v64
	;; [unrolled: 1-line block ×4, first 2 shown]
	v_add_f32_e32 v25, v47, v46
	v_fma_f32 v46, 0xbf3f9e67, v30, -v88
	v_mul_f32_e32 v104, 0x3e750f2a, v59
	v_fmamk_f32 v119, v29, 0x3df6dbef, v117
	v_fma_f32 v113, 0xbeb58ec6, v26, -v111
	v_mul_f32_e32 v114, 0x3f29c268, v57
	v_add_f32_e32 v25, v46, v25
	v_fma_f32 v46, 0x3f116cb1, v32, -v91
	v_mul_f32_e32 v89, 0x3f7e222b, v66
	v_mul_f32_e32 v152, 0x3e750f2a, v60
	;; [unrolled: 1-line block ×4, first 2 shown]
	v_add_f32_e32 v46, v46, v25
	v_mul_f32_e32 v87, 0xbf788fa5, v37
	v_fma_f32 v161, 0xbf788fa5, v34, -v152
	v_fma_f32 v167, 0xbf788fa5, v27, -v164
	v_mul_f32_e32 v169, 0xbf6f5d39, v62
	v_dual_add_f32 v46, v95, v46 :: v_dual_fmamk_f32 v47, v37, 0x3df6dbef, v89
	v_mul_f32_e32 v95, 0x3f7e222b, v56
	v_mul_f32_e32 v162, 0xbf52af12, v65
	s_delay_alu instid0(VALU_DEP_4) | instskip(NEXT) | instid1(VALU_DEP_4)
	v_fmamk_f32 v170, v28, 0xbeb58ec6, v169
	v_dual_mul_f32 v168, 0x3f6f5d39, v58 :: v_dual_add_f32 v25, v47, v24
	v_add_f32_e32 v24, v68, v67
	v_fma_f32 v68, 0xbf3f9e67, v26, -v97
	v_fmamk_f32 v47, v31, 0x3f116cb1, v94
	v_fma_f32 v67, 0x3df6dbef, v36, -v95
	v_fmamk_f32 v166, v35, 0x3f116cb1, v162
	v_mul_f32_e32 v110, 0xbf6f5d39, v56
	v_dual_mul_f32 v70, 0x3f62ad3f, v26 :: v_dual_mul_f32 v71, 0x3f62ad3f, v29
	v_dual_add_f32 v24, v47, v24 :: v_dual_fmamk_f32 v47, v33, 0xbf788fa5, v96
	s_delay_alu instid0(VALU_DEP_3)
	v_fma_f32 v112, 0xbeb58ec6, v36, -v110
	v_mul_f32_e32 v109, 0x3eedf032, v63
	v_add_f32_e32 v119, v119, v1
	v_mul_f32_e32 v63, 0xbe750f2a, v63
	v_add_f32_e32 v47, v47, v24
	v_add_f32_e32 v24, v67, v46
	;; [unrolled: 1-line block ×3, first 2 shown]
	v_dual_mul_f32 v78, 0xbeb58ec6, v32 :: v_dual_mul_f32 v79, 0xbeb58ec6, v33
	s_delay_alu instid0(VALU_DEP_4) | instskip(SKIP_4) | instid1(VALU_DEP_4)
	v_add_f32_e32 v47, v101, v47
	v_mul_f32_e32 v101, 0xbf6f5d39, v66
	v_fmac_f32_e32 v164, 0xbf788fa5, v27
	v_dual_add_f32 v2, v2, v0 :: v_dual_add_f32 v53, v53, v74
	v_add_f32_e32 v50, v50, v71
	v_fmamk_f32 v68, v37, 0xbeb58ec6, v101
	v_mul_f32_e32 v100, 0x3f7e222b, v57
	v_add_f32_e32 v43, v43, v77
	s_delay_alu instid0(VALU_DEP_4) | instskip(NEXT) | instid1(VALU_DEP_4)
	v_dual_fmac_f32 v83, 0xbf788fa5, v26 :: v_dual_add_f32 v50, v50, v1
	v_add_f32_e32 v47, v68, v47
	s_delay_alu instid0(VALU_DEP_4) | instskip(SKIP_3) | instid1(VALU_DEP_4)
	v_fma_f32 v67, 0x3df6dbef, v27, -v100
	v_dual_add_f32 v68, v108, v105 :: v_dual_fmamk_f32 v105, v31, 0x3f62ad3f, v109
	v_mul_f32_e32 v102, 0xbf52af12, v58
	v_mul_f32_e32 v108, 0xbf7e222b, v64
	v_add_f32_e32 v46, v67, v46
	v_add_f32_e32 v3, v3, v1
	v_fmac_f32_e32 v97, 0xbf3f9e67, v26
	v_fma_f32 v67, 0x3f116cb1, v30, -v102
	v_fmac_f32_e32 v91, 0x3f116cb1, v32
	v_fmac_f32_e32 v93, 0xbeb58ec6, v34
	v_dual_add_f32 v3, v21, v3 :: v_dual_add_f32 v2, v20, v2
	s_delay_alu instid0(VALU_DEP_4) | instskip(SKIP_2) | instid1(VALU_DEP_4)
	v_add_f32_e32 v46, v67, v46
	v_fma_f32 v67, 0xbf788fa5, v32, -v104
	v_mul_f32_e32 v21, 0x3eedf032, v56
	v_dual_add_f32 v3, v23, v3 :: v_dual_add_f32 v2, v22, v2
	v_add_f32_e32 v50, v53, v50
	s_delay_alu instid0(VALU_DEP_4) | instskip(NEXT) | instid1(VALU_DEP_3)
	v_dual_add_f32 v46, v67, v46 :: v_dual_mul_f32 v107, 0x3eedf032, v60
	v_dual_add_f32 v3, v17, v3 :: v_dual_sub_f32 v38, v70, v38
	s_delay_alu instid0(VALU_DEP_3) | instskip(SKIP_1) | instid1(VALU_DEP_4)
	v_dual_add_f32 v43, v43, v50 :: v_dual_add_f32 v22, v45, v79
	v_add_f32_e32 v17, v51, v82
	v_fma_f32 v67, 0x3f62ad3f, v34, -v107
	s_delay_alu instid0(VALU_DEP_4) | instskip(NEXT) | instid1(VALU_DEP_4)
	v_dual_add_f32 v3, v19, v3 :: v_dual_add_f32 v2, v16, v2
	v_add_f32_e32 v16, v22, v43
	v_fma_f32 v23, 0x3f62ad3f, v36, -v21
	s_delay_alu instid0(VALU_DEP_3) | instskip(SKIP_2) | instid1(VALU_DEP_3)
	v_dual_add_f32 v46, v67, v46 :: v_dual_add_f32 v3, v13, v3
	v_sub_f32_e32 v13, v75, v40
	v_add_f32_e32 v22, v38, v0
	v_dual_fmac_f32 v95, 0x3df6dbef, v36 :: v_dual_add_f32 v46, v112, v46
	s_delay_alu instid0(VALU_DEP_4)
	v_dual_add_f32 v3, v15, v3 :: v_dual_add_f32 v112, v113, v0
	v_add_f32_e32 v67, v105, v68
	v_fmamk_f32 v68, v33, 0x3df6dbef, v108
	v_mul_f32_e32 v105, 0x3e750f2a, v65
	v_fma_f32 v113, 0xbf3f9e67, v27, -v114
	v_dual_mul_f32 v65, 0x3f7e222b, v65 :: v_dual_add_f32 v2, v18, v2
	v_add_f32_e32 v3, v9, v3
	s_delay_alu instid0(VALU_DEP_4) | instskip(SKIP_1) | instid1(VALU_DEP_3)
	v_dual_add_f32 v67, v68, v67 :: v_dual_fmamk_f32 v68, v35, 0xbf788fa5, v105
	v_sub_f32_e32 v18, v72, v39
	v_dual_add_f32 v16, v17, v16 :: v_dual_add_f32 v3, v11, v3
	v_dual_add_f32 v2, v12, v2 :: v_dual_sub_f32 v11, v85, v44
	s_delay_alu instid0(VALU_DEP_4) | instskip(SKIP_4) | instid1(VALU_DEP_4)
	v_dual_add_f32 v67, v68, v67 :: v_dual_add_f32 v68, v113, v112
	v_mul_f32_e32 v115, 0x3eedf032, v58
	v_mul_f32_e32 v113, 0xbf7e222b, v59
	;; [unrolled: 1-line block ×3, first 2 shown]
	v_dual_add_f32 v12, v18, v22 :: v_dual_add_f32 v5, v5, v3
	v_fma_f32 v112, 0x3f62ad3f, v30, -v115
	v_add_f32_e32 v17, v54, v87
	v_add_f32_e32 v2, v14, v2
	v_fma_f32 v14, 0xbf788fa5, v29, -v69
	v_dual_add_f32 v12, v13, v12 :: v_dual_add_f32 v5, v7, v5
	v_add_f32_e32 v68, v112, v68
	v_fma_f32 v112, 0x3df6dbef, v32, -v113
	v_sub_f32_e32 v13, v78, v41
	v_fma_f32 v9, 0x3f62ad3f, v28, -v73
	v_dual_add_f32 v3, v17, v16 :: v_dual_add_f32 v2, v8, v2
	s_delay_alu instid0(VALU_DEP_4)
	v_dual_add_f32 v5, v49, v5 :: v_dual_add_f32 v112, v112, v68
	v_add_f32_e32 v8, v14, v1
	v_add_f32_e32 v12, v13, v12
	v_sub_f32_e32 v13, v81, v42
	v_add_f32_e32 v2, v10, v2
	v_add_f32_e32 v112, v161, v112
	v_mul_f32_e32 v161, 0x3f52af12, v56
	v_fmamk_f32 v118, v37, 0x3f116cb1, v116
	v_add_f32_e32 v8, v9, v8
	v_fma_f32 v9, 0xbf3f9e67, v31, -v76
	v_add_f32_e32 v4, v4, v2
	v_fma_f32 v165, 0x3f116cb1, v36, -v161
	v_add_f32_e32 v68, v118, v67
	v_dual_add_f32 v67, v158, v119 :: v_dual_fmamk_f32 v118, v31, 0xbeb58ec6, v160
	v_mul_f32_e32 v158, 0xbf7e222b, v55
	v_dual_mul_f32 v55, 0xbf52af12, v55 :: v_dual_add_f32 v8, v9, v8
	v_fma_f32 v9, 0x3f116cb1, v33, -v80
	s_delay_alu instid0(VALU_DEP_4)
	v_add_f32_e32 v67, v118, v67
	v_mul_f32_e32 v119, 0x3eedf032, v64
	v_fma_f32 v163, 0x3df6dbef, v26, -v158
	v_mul_f32_e32 v64, 0x3f29c268, v64
	v_add_f32_e32 v10, v13, v12
	v_fma_f32 v7, 0xbeb58ec6, v35, -v84
	s_delay_alu instid0(VALU_DEP_4) | instskip(SKIP_1) | instid1(VALU_DEP_4)
	v_dual_fmamk_f32 v118, v33, 0x3f62ad3f, v119 :: v_dual_add_f32 v163, v163, v0
	v_fma_f32 v13, 0x3df6dbef, v29, -v117
	v_add_f32_e32 v2, v11, v10
	v_fmac_f32_e32 v86, 0x3f62ad3f, v27
	s_delay_alu instid0(VALU_DEP_4) | instskip(NEXT) | instid1(VALU_DEP_4)
	v_dual_add_f32 v118, v118, v67 :: v_dual_add_f32 v67, v165, v112
	v_add_f32_e32 v13, v13, v1
	v_mul_f32_e32 v165, 0x3eedf032, v59
	s_delay_alu instid0(VALU_DEP_3) | instskip(SKIP_2) | instid1(VALU_DEP_4)
	v_dual_mul_f32 v59, 0x3f29c268, v59 :: v_dual_add_f32 v112, v166, v118
	v_dual_mul_f32 v118, 0xbf52af12, v61 :: v_dual_add_f32 v61, v167, v163
	v_fma_f32 v163, 0xbeb58ec6, v30, -v168
	v_fma_f32 v62, 0x3f62ad3f, v32, -v165
	;; [unrolled: 1-line block ×4, first 2 shown]
	s_delay_alu instid0(VALU_DEP_4) | instskip(SKIP_1) | instid1(VALU_DEP_3)
	v_dual_fmac_f32 v88, 0xbf3f9e67, v30 :: v_dual_add_f32 v61, v163, v61
	v_mul_f32_e32 v163, 0xbf52af12, v60
	v_dual_mul_f32 v60, 0x3f7e222b, v60 :: v_dual_add_f32 v13, v14, v13
	v_dual_add_f32 v4, v6, v4 :: v_dual_fmac_f32 v107, 0x3f62ad3f, v34
	s_delay_alu instid0(VALU_DEP_4) | instskip(NEXT) | instid1(VALU_DEP_4)
	v_add_f32_e32 v61, v62, v61
	v_fma_f32 v172, 0x3f116cb1, v34, -v163
	s_delay_alu instid0(VALU_DEP_4) | instskip(SKIP_2) | instid1(VALU_DEP_4)
	v_fma_f32 v74, 0x3df6dbef, v34, -v60
	v_dual_add_f32 v6, v9, v8 :: v_dual_fmac_f32 v111, 0xbeb58ec6, v26
	v_fma_f32 v8, 0xbf3f9e67, v29, -v90
	v_dual_add_f32 v61, v172, v61 :: v_dual_mul_f32 v172, 0xbf29c268, v56
	v_add_f32_e32 v9, v83, v0
	v_fma_f32 v14, 0xbeb58ec6, v31, -v160
	v_fmac_f32_e32 v158, 0x3df6dbef, v26
	v_fmac_f32_e32 v104, 0xbf788fa5, v32
	v_fma_f32 v173, 0xbf3f9e67, v36, -v172
	v_mul_f32_e32 v166, 0xbf29c268, v66
	v_fma_f32 v11, 0xbeb58ec6, v29, -v103
	v_fmac_f32_e32 v114, 0xbf3f9e67, v27
	s_delay_alu instid0(VALU_DEP_4) | instskip(NEXT) | instid1(VALU_DEP_4)
	v_dual_fmac_f32 v60, 0x3df6dbef, v34 :: v_dual_add_f32 v61, v173, v61
	v_fmamk_f32 v171, v37, 0xbf3f9e67, v166
	v_fmamk_f32 v167, v29, 0x3f116cb1, v118
	v_fmac_f32_e32 v152, 0xbf788fa5, v34
	v_lshl_add_u32 v18, v157, 3, v156
	v_add_f32_e32 v6, v7, v6
	v_add_f32_e32 v62, v171, v112
	;; [unrolled: 1-line block ×3, first 2 shown]
	v_mul_f32_e32 v171, 0xbf6f5d39, v57
	v_fma_f32 v7, 0x3df6dbef, v37, -v89
	v_dual_add_f32 v8, v8, v1 :: v_dual_fmac_f32 v113, 0x3df6dbef, v32
	s_delay_alu instid0(VALU_DEP_4) | instskip(SKIP_2) | instid1(VALU_DEP_3)
	v_dual_add_f32 v167, v170, v167 :: v_dual_fmamk_f32 v170, v31, 0xbf788fa5, v63
	v_add_f32_e32 v12, v111, v0
	v_dual_add_f32 v4, v48, v4 :: v_dual_fmac_f32 v115, 0x3f62ad3f, v30
	v_dual_add_f32 v7, v7, v6 :: v_dual_add_f32 v112, v170, v167
	v_fmamk_f32 v167, v33, 0xbf3f9e67, v64
	v_fma_f32 v170, 0x3f116cb1, v26, -v55
	v_dual_add_f32 v6, v86, v9 :: v_dual_fmac_f32 v161, 0x3f116cb1, v36
	v_add_f32_e32 v8, v10, v8
	s_delay_alu instid0(VALU_DEP_4) | instskip(NEXT) | instid1(VALU_DEP_4)
	v_add_f32_e32 v57, v167, v112
	v_dual_fmamk_f32 v112, v35, 0x3df6dbef, v65 :: v_dual_add_f32 v167, v170, v0
	v_fma_f32 v170, 0xbeb58ec6, v27, -v171
	v_fma_f32 v9, 0x3f116cb1, v31, -v94
	v_dual_add_f32 v10, v97, v0 :: v_dual_add_f32 v13, v14, v13
	s_delay_alu instid0(VALU_DEP_3) | instskip(SKIP_4) | instid1(VALU_DEP_4)
	v_dual_add_f32 v57, v112, v57 :: v_dual_add_f32 v112, v170, v167
	v_fma_f32 v167, 0xbf788fa5, v30, -v58
	v_fma_f32 v14, 0x3f62ad3f, v33, -v119
	v_fmac_f32_e32 v100, 0x3df6dbef, v27
	v_fmac_f32_e32 v168, 0xbeb58ec6, v30
	v_dual_fmac_f32 v58, 0xbf788fa5, v30 :: v_dual_add_f32 v71, v167, v112
	s_delay_alu instid0(VALU_DEP_4) | instskip(SKIP_4) | instid1(VALU_DEP_3)
	v_add_f32_e32 v13, v14, v13
	v_fma_f32 v112, 0xbf3f9e67, v32, -v59
	v_mul_f32_e32 v66, 0x3eedf032, v66
	v_dual_add_f32 v6, v88, v6 :: v_dual_add_f32 v15, v158, v0
	v_dual_add_f32 v8, v9, v8 :: v_dual_fmac_f32 v55, 0x3f116cb1, v26
	v_dual_add_f32 v71, v112, v71 :: v_dual_fmamk_f32 v170, v37, 0x3f62ad3f, v66
	v_fma_f32 v9, 0xbf788fa5, v33, -v96
	v_add_f32_e32 v10, v100, v10
	v_dual_fmac_f32 v102, 0x3f116cb1, v30 :: v_dual_add_f32 v15, v164, v15
	s_delay_alu instid0(VALU_DEP_4) | instskip(SKIP_2) | instid1(VALU_DEP_4)
	v_add_f32_e32 v20, v74, v71
	v_dual_add_f32 v6, v91, v6 :: v_dual_fmac_f32 v171, 0xbeb58ec6, v27
	v_add_f32_e32 v0, v55, v0
	v_dual_add_f32 v8, v9, v8 :: v_dual_add_f32 v15, v168, v15
	s_delay_alu instid0(VALU_DEP_4) | instskip(SKIP_4) | instid1(VALU_DEP_4)
	v_add_f32_e32 v56, v23, v20
	v_fma_f32 v9, 0x3f62ad3f, v35, -v99
	v_add_f32_e32 v10, v102, v10
	v_add_f32_e32 v0, v171, v0
	v_fmac_f32_e32 v59, 0xbf3f9e67, v32
	v_dual_fmac_f32 v163, 0x3f116cb1, v34 :: v_dual_add_f32 v8, v9, v8
	v_fma_f32 v9, 0xbeb58ec6, v37, -v101
	v_add_f32_e32 v10, v104, v10
	v_fma_f32 v16, 0x3f62ad3f, v37, -v66
	v_add_f32_e32 v12, v114, v12
	;; [unrolled: 2-line block ×3, first 2 shown]
	v_dual_add_f32 v9, v9, v8 :: v_dual_add_f32 v8, v107, v10
	s_delay_alu instid0(VALU_DEP_4) | instskip(SKIP_1) | instid1(VALU_DEP_4)
	v_add_f32_e32 v12, v115, v12
	v_dual_add_f32 v6, v93, v6 :: v_dual_fmac_f32 v165, 0x3f62ad3f, v32
	v_add_f32_e32 v0, v59, v0
	v_add_f32_e32 v10, v11, v1
	v_fma_f32 v11, 0xbf3f9e67, v28, -v106
	v_add_f32_e32 v12, v113, v12
	v_fmac_f32_e32 v21, 0x3f62ad3f, v36
	v_dual_add_f32 v17, v60, v0 :: v_dual_add_f32 v6, v95, v6
	s_delay_alu instid0(VALU_DEP_4) | instskip(SKIP_2) | instid1(VALU_DEP_3)
	v_dual_add_f32 v15, v165, v15 :: v_dual_add_f32 v10, v11, v10
	v_fma_f32 v11, 0x3f62ad3f, v31, -v109
	v_add_f32_e32 v12, v152, v12
	v_dual_fmac_f32 v110, 0xbeb58ec6, v36 :: v_dual_add_f32 v15, v163, v15
	s_delay_alu instid0(VALU_DEP_3) | instskip(SKIP_2) | instid1(VALU_DEP_2)
	v_dual_add_f32 v57, v170, v57 :: v_dual_add_f32 v10, v11, v10
	v_fma_f32 v11, 0x3df6dbef, v33, -v108
	v_fmac_f32_e32 v172, 0xbf3f9e67, v36
	v_add_f32_e32 v10, v11, v10
	v_fma_f32 v11, 0xbf788fa5, v35, -v105
	s_delay_alu instid0(VALU_DEP_3) | instskip(NEXT) | instid1(VALU_DEP_2)
	v_add_f32_e32 v0, v172, v15
	v_add_f32_e32 v10, v11, v10
	v_fma_f32 v11, 0x3f116cb1, v37, -v116
	s_delay_alu instid0(VALU_DEP_1) | instskip(SKIP_3) | instid1(VALU_DEP_2)
	v_dual_add_f32 v11, v11, v10 :: v_dual_add_f32 v10, v161, v12
	v_add_f32_e32 v12, v14, v13
	v_fma_f32 v13, 0x3f116cb1, v29, -v118
	v_fma_f32 v14, 0xbf3f9e67, v37, -v166
	v_add_f32_e32 v1, v13, v1
	v_fma_f32 v13, 0xbeb58ec6, v28, -v169
	s_delay_alu instid0(VALU_DEP_1) | instskip(SKIP_1) | instid1(VALU_DEP_1)
	v_add_f32_e32 v1, v13, v1
	v_fma_f32 v13, 0xbf788fa5, v31, -v63
	v_add_f32_e32 v1, v13, v1
	v_fma_f32 v13, 0xbf3f9e67, v33, -v64
	s_delay_alu instid0(VALU_DEP_1) | instskip(SKIP_1) | instid1(VALU_DEP_1)
	v_add_f32_e32 v1, v13, v1
	v_fma_f32 v13, 0x3df6dbef, v35, -v65
	v_dual_add_f32 v8, v110, v8 :: v_dual_add_f32 v13, v13, v1
	v_dual_add_f32 v1, v14, v12 :: v_dual_add_f32 v12, v21, v17
	s_delay_alu instid0(VALU_DEP_2)
	v_add_f32_e32 v13, v16, v13
	ds_store_2addr_b64 v18, v[4:5], v[2:3] offset1:1
	ds_store_2addr_b64 v18, v[56:57], v[61:62] offset0:2 offset1:3
	ds_store_2addr_b64 v18, v[67:68], v[46:47] offset0:4 offset1:5
	;; [unrolled: 1-line block ×5, first 2 shown]
	ds_store_b64 v18, v[149:150] offset:96
.LBB0_7:
	s_wait_alu 0xfffe
	s_or_b32 exec_lo, exec_lo, s2
	v_lshlrev_b32_e32 v47, 5, v155
	v_add_co_u32 v46, null, v155, 26
	global_wb scope:SCOPE_SE
	s_wait_dscnt 0x0
	s_barrier_signal -1
	s_barrier_wait -1
	global_inv scope:SCOPE_SE
	s_clause 0x1
	global_load_b128 v[4:7], v47, s[0:1]
	global_load_b128 v[0:3], v47, s[0:1] offset:16
	v_and_b32_e32 v8, 0xff, v46
	v_add_co_u32 v48, null, v155, 39
	v_add_co_u32 v49, null, v155, 52
	s_delay_alu instid0(VALU_DEP_3) | instskip(NEXT) | instid1(VALU_DEP_3)
	v_mul_lo_u16 v8, 0x4f, v8
	v_and_b32_e32 v9, 0xff, v48
	v_add_nc_u32_e32 v99, 0x800, v154
	s_delay_alu instid0(VALU_DEP_4) | instskip(NEXT) | instid1(VALU_DEP_4)
	v_and_b32_e32 v10, 0xff, v49
	v_lshrrev_b16 v8, 10, v8
	s_delay_alu instid0(VALU_DEP_4) | instskip(NEXT) | instid1(VALU_DEP_2)
	v_mul_lo_u16 v9, 0x4f, v9
	v_mul_lo_u16 v8, v8, 13
	s_delay_alu instid0(VALU_DEP_2) | instskip(NEXT) | instid1(VALU_DEP_2)
	v_lshrrev_b16 v9, 10, v9
	v_sub_nc_u16 v50, v46, v8
	v_mul_lo_u16 v8, 0x4f, v10
	s_delay_alu instid0(VALU_DEP_3) | instskip(NEXT) | instid1(VALU_DEP_3)
	v_mul_lo_u16 v9, v9, 13
	v_lshlrev_b16 v10, 2, v50
	s_delay_alu instid0(VALU_DEP_3) | instskip(NEXT) | instid1(VALU_DEP_3)
	v_lshrrev_b16 v8, 10, v8
	v_sub_nc_u16 v51, v48, v9
	v_and_b32_e32 v50, 0xff, v50
	s_delay_alu instid0(VALU_DEP_4) | instskip(NEXT) | instid1(VALU_DEP_4)
	v_and_b32_e32 v9, 0xfc, v10
	v_mul_lo_u16 v8, v8, 13
	s_delay_alu instid0(VALU_DEP_4) | instskip(NEXT) | instid1(VALU_DEP_3)
	v_lshlrev_b16 v10, 2, v51
	v_lshlrev_b32_e32 v9, 3, v9
	s_delay_alu instid0(VALU_DEP_3) | instskip(NEXT) | instid1(VALU_DEP_3)
	v_sub_nc_u16 v53, v49, v8
	v_and_b32_e32 v8, 0xfc, v10
	global_load_b128 v[28:31], v9, s[0:1]
	v_lshlrev_b16 v10, 2, v53
	v_lshlrev_b32_e32 v8, 3, v8
	global_load_b128 v[24:27], v9, s[0:1] offset:16
	v_and_b32_e32 v53, 0xff, v53
	global_load_b128 v[20:23], v8, s[0:1]
	v_and_b32_e32 v9, 0xfc, v10
	s_delay_alu instid0(VALU_DEP_1)
	v_lshlrev_b32_e32 v9, 3, v9
	s_clause 0x2
	global_load_b128 v[16:19], v8, s[0:1] offset:16
	global_load_b128 v[12:15], v9, s[0:1]
	global_load_b128 v[8:11], v9, s[0:1] offset:16
	ds_load_2addr_b64 v[32:35], v154 offset0:52 offset1:65
	ds_load_2addr_b64 v[54:57], v154 offset0:130 offset1:143
	;; [unrolled: 1-line block ×6, first 2 shown]
	ds_load_2addr_b64 v[40:43], v154 offset1:13
	ds_load_2addr_b64 v[36:39], v154 offset0:26 offset1:39
	ds_load_2addr_b64 v[74:77], v154 offset0:156 offset1:169
	;; [unrolled: 1-line block ×4, first 2 shown]
	ds_load_b64 v[90:91], v154 offset:2496
	ds_load_2addr_b64 v[86:89], v99 offset0:30 offset1:43
	global_wb scope:SCOPE_SE
	s_wait_loadcnt_dscnt 0x0
	s_barrier_signal -1
	s_barrier_wait -1
	global_inv scope:SCOPE_SE
	v_mul_f32_e32 v102, v57, v7
	v_mul_f32_e32 v44, v35, v5
	v_dual_mul_f32 v45, v34, v5 :: v_dual_mul_f32 v92, v55, v7
	v_dual_mul_f32 v93, v54, v7 :: v_dual_mul_f32 v94, v61, v1
	;; [unrolled: 1-line block ×5, first 2 shown]
	v_mul_f32_e32 v104, v71, v1
	v_fma_f32 v34, v34, v4, -v44
	v_fmac_f32_e32 v45, v35, v4
	v_fma_f32 v35, v54, v6, -v92
	v_mul_f32_e32 v103, v56, v7
	v_fma_f32 v54, v60, v0, -v94
	v_fmac_f32_e32 v95, v61, v0
	v_fma_f32 v92, v62, v2, -v96
	v_fmac_f32_e32 v93, v55, v6
	v_mul_f32_e32 v105, v70, v1
	v_mul_f32_e32 v107, v64, v3
	v_fma_f32 v44, v66, v4, -v100
	v_fma_f32 v55, v56, v6, -v102
	;; [unrolled: 1-line block ×3, first 2 shown]
	v_sub_f32_e32 v70, v54, v92
	v_fma_f32 v66, v64, v2, -v106
	v_add_f32_e32 v56, v40, v34
	v_sub_f32_e32 v62, v92, v54
	v_sub_f32_e32 v64, v35, v34
	;; [unrolled: 1-line block ×3, first 2 shown]
	v_dual_fmac_f32 v101, v67, v4 :: v_dual_sub_f32 v102, v45, v93
	v_sub_f32_e32 v100, v35, v54
	v_dual_fmac_f32 v97, v63, v2 :: v_dual_add_f32 v94, v93, v95
	v_fmac_f32_e32 v103, v57, v6
	v_add_f32_e32 v57, v35, v54
	v_dual_add_f32 v63, v34, v92 :: v_dual_add_f32 v118, v43, v101
	s_delay_alu instid0(VALU_DEP_4)
	v_dual_fmac_f32 v105, v71, v0 :: v_dual_sub_f32 v104, v97, v95
	v_dual_fmac_f32 v107, v65, v2 :: v_dual_add_f32 v110, v55, v60
	v_dual_sub_f32 v65, v45, v97 :: v_dual_sub_f32 v114, v66, v60
	v_dual_sub_f32 v61, v34, v35 :: v_dual_sub_f32 v116, v55, v44
	v_dual_add_f32 v71, v41, v45 :: v_dual_sub_f32 v152, v55, v60
	v_add_f32_e32 v106, v45, v97
	v_dual_sub_f32 v45, v93, v45 :: v_dual_add_f32 v56, v56, v35
	v_dual_sub_f32 v108, v95, v97 :: v_dual_sub_f32 v67, v93, v95
	v_dual_sub_f32 v112, v103, v105 :: v_dual_add_f32 v109, v42, v44
	v_dual_sub_f32 v158, v101, v103 :: v_dual_add_f32 v115, v44, v66
	v_sub_f32_e32 v162, v105, v107
	v_fma_f32 v34, -0.5, v57, v40
	v_fma_f32 v40, -0.5, v63, v40
	v_dual_sub_f32 v111, v101, v107 :: v_dual_sub_f32 v160, v107, v105
	v_sub_f32_e32 v113, v44, v55
	v_sub_f32_e32 v117, v60, v66
	v_dual_add_f32 v119, v103, v105 :: v_dual_add_f32 v70, v64, v70
	v_sub_f32_e32 v151, v44, v66
	v_add_f32_e32 v163, v61, v62
	v_dual_add_f32 v57, v71, v93 :: v_dual_add_f32 v64, v56, v54
	v_fma_f32 v35, -0.5, v94, v41
	v_fma_f32 v41, -0.5, v106, v41
	;; [unrolled: 1-line block ×4, first 2 shown]
	v_add_f32_e32 v61, v109, v55
	v_fmamk_f32 v54, v65, 0x3f737871, v34
	v_dual_fmac_f32 v34, 0xbf737871, v65 :: v_dual_add_f32 v161, v101, v107
	v_fmamk_f32 v56, v67, 0xbf737871, v40
	v_dual_fmac_f32 v40, 0x3f737871, v67 :: v_dual_sub_f32 v101, v103, v101
	v_dual_add_f32 v94, v113, v114 :: v_dual_add_f32 v71, v102, v104
	v_dual_add_f32 v93, v45, v108 :: v_dual_add_f32 v102, v116, v117
	v_fma_f32 v45, -0.5, v119, v43
	v_fmac_f32_e32 v43, -0.5, v161
	v_dual_add_f32 v95, v57, v95 :: v_dual_fmac_f32 v56, 0x3f167918, v65
	v_fmamk_f32 v55, v96, 0xbf737871, v35
	v_fmamk_f32 v57, v100, 0x3f737871, v41
	v_dual_fmamk_f32 v62, v112, 0xbf737871, v42 :: v_dual_add_f32 v63, v118, v103
	v_add_f32_e32 v104, v61, v60
	v_dual_fmac_f32 v35, 0x3f737871, v96 :: v_dual_fmamk_f32 v60, v111, 0x3f737871, v44
	v_fmac_f32_e32 v44, 0xbf737871, v111
	v_fmac_f32_e32 v42, 0x3f737871, v112
	s_delay_alu instid0(VALU_DEP_4)
	v_add_f32_e32 v66, v104, v66
	v_dual_fmac_f32 v40, 0xbf167918, v65 :: v_dual_add_f32 v101, v101, v162
	v_add_f32_e32 v64, v64, v92
	v_fmac_f32_e32 v41, 0xbf737871, v100
	v_dual_add_f32 v105, v63, v105 :: v_dual_fmac_f32 v34, 0xbf167918, v67
	v_fmamk_f32 v61, v151, 0xbf737871, v45
	v_fmac_f32_e32 v45, 0x3f737871, v151
	v_fmamk_f32 v63, v152, 0x3f737871, v43
	v_dual_fmac_f32 v43, 0xbf737871, v152 :: v_dual_mul_f32 v104, v83, v17
	v_dual_add_f32 v65, v95, v97 :: v_dual_fmac_f32 v60, 0x3f167918, v112
	v_dual_fmac_f32 v35, 0x3f167918, v100 :: v_dual_fmac_f32 v62, 0x3f167918, v111
	v_fmac_f32_e32 v44, 0xbf167918, v112
	v_fmac_f32_e32 v42, 0xbf167918, v111
	;; [unrolled: 1-line block ×3, first 2 shown]
	s_delay_alu instid0(VALU_DEP_4) | instskip(SKIP_4) | instid1(VALU_DEP_4)
	v_dual_fmac_f32 v40, 0x3e9e377a, v70 :: v_dual_fmac_f32 v35, 0x3e9e377a, v71
	v_dual_mul_f32 v70, v69, v29 :: v_dual_fmac_f32 v55, 0xbf167918, v100
	v_dual_mul_f32 v92, v75, v31 :: v_dual_fmac_f32 v57, 0xbf167918, v96
	v_dual_add_f32 v103, v158, v160 :: v_dual_fmac_f32 v54, 0x3f167918, v67
	v_add_f32_e32 v67, v105, v107
	v_dual_fmac_f32 v55, 0x3e9e377a, v71 :: v_dual_fmac_f32 v62, 0x3e9e377a, v102
	v_dual_mul_f32 v71, v68, v29 :: v_dual_mul_f32 v114, v91, v11
	v_dual_mul_f32 v100, v79, v21 :: v_dual_fmac_f32 v45, 0x3f167918, v152
	v_mul_f32_e32 v110, v59, v15
	v_fmac_f32_e32 v44, 0x3e9e377a, v94
	v_mul_f32_e32 v108, v81, v13
	v_fma_f32 v68, v68, v28, -v70
	v_fmac_f32_e32 v45, 0x3e9e377a, v103
	v_fmac_f32_e32 v43, 0x3f167918, v151
	;; [unrolled: 1-line block ×3, first 2 shown]
	v_dual_mul_f32 v102, v77, v23 :: v_dual_fmac_f32 v61, 0xbf167918, v152
	v_fmac_f32_e32 v60, 0x3e9e377a, v94
	v_dual_mul_f32 v94, v73, v25 :: v_dual_fmac_f32 v41, 0x3f167918, v96
	v_mul_f32_e32 v106, v89, v19
	v_mul_f32_e32 v96, v87, v27
	;; [unrolled: 1-line block ×3, first 2 shown]
	v_fma_f32 v70, v78, v20, -v100
	v_dual_fmac_f32 v54, 0x3e9e377a, v163 :: v_dual_fmac_f32 v57, 0x3e9e377a, v93
	s_delay_alu instid0(VALU_DEP_4) | instskip(SKIP_4) | instid1(VALU_DEP_4)
	v_fma_f32 v86, v86, v26, -v96
	v_dual_mul_f32 v95, v72, v25 :: v_dual_fmac_f32 v34, 0x3e9e377a, v163
	v_fmac_f32_e32 v41, 0x3e9e377a, v93
	v_fmac_f32_e32 v61, 0x3e9e377a, v103
	v_fma_f32 v72, v72, v24, -v94
	v_fmac_f32_e32 v95, v73, v24
	v_fma_f32 v73, v76, v22, -v102
	v_mul_f32_e32 v93, v74, v31
	v_mul_f32_e32 v105, v82, v17
	v_fmac_f32_e32 v71, v69, v28
	v_fma_f32 v69, v74, v30, -v92
	v_fma_f32 v74, v80, v12, -v108
	v_dual_sub_f32 v108, v70, v73 :: v_dual_mul_f32 v103, v76, v23
	v_dual_fmac_f32 v63, 0xbf167918, v151 :: v_dual_mul_f32 v112, v85, v9
	v_mul_f32_e32 v107, v88, v19
	v_fma_f32 v76, v82, v16, -v104
	v_fmac_f32_e32 v105, v83, v16
	v_fma_f32 v83, v88, v18, -v106
	v_fmac_f32_e32 v103, v77, v22
	v_mul_f32_e32 v115, v90, v11
	v_fma_f32 v88, v90, v10, -v114
	v_sub_f32_e32 v90, v68, v86
	v_dual_fmac_f32 v97, v87, v26 :: v_dual_sub_f32 v116, v76, v83
	v_fmac_f32_e32 v63, 0x3e9e377a, v101
	v_dual_mul_f32 v109, v80, v13 :: v_dual_add_f32 v100, v38, v70
	v_fma_f32 v80, v84, v8, -v112
	v_sub_f32_e32 v82, v72, v86
	v_dual_add_f32 v94, v71, v97 :: v_dual_fmac_f32 v107, v89, v18
	v_fmac_f32_e32 v93, v75, v30
	v_fma_f32 v75, v58, v14, -v110
	v_add_f32_e32 v112, v70, v83
	v_dual_mul_f32 v111, v58, v15 :: v_dual_sub_f32 v96, v95, v97
	v_dual_add_f32 v58, v36, v68 :: v_dual_fmac_f32 v43, 0x3e9e377a, v101
	v_mul_f32_e32 v101, v78, v21
	v_dual_mul_f32 v113, v84, v9 :: v_dual_add_f32 v102, v73, v76
	v_add_f32_e32 v84, v37, v71
	v_sub_f32_e32 v110, v83, v76
	s_delay_alu instid0(VALU_DEP_4) | instskip(NEXT) | instid1(VALU_DEP_4)
	v_dual_fmac_f32 v101, v79, v20 :: v_dual_sub_f32 v114, v73, v70
	v_dual_fmac_f32 v113, v85, v8 :: v_dual_sub_f32 v168, v75, v74
	v_sub_f32_e32 v119, v70, v83
	s_delay_alu instid0(VALU_DEP_3)
	v_sub_f32_e32 v70, v101, v103
	v_add_f32_e32 v118, v103, v105
	v_dual_fmac_f32 v111, v59, v14 :: v_dual_add_f32 v158, v101, v107
	v_add_f32_e32 v59, v69, v72
	v_dual_fmac_f32 v109, v81, v12 :: v_dual_sub_f32 v152, v107, v105
	v_dual_sub_f32 v85, v71, v97 :: v_dual_sub_f32 v166, v88, v80
	v_dual_sub_f32 v77, v68, v69 :: v_dual_sub_f32 v172, v74, v88
	v_dual_sub_f32 v78, v86, v72 :: v_dual_add_f32 v79, v68, v86
	s_delay_alu instid0(VALU_DEP_4)
	v_add_f32_e32 v170, v33, v109
	v_sub_f32_e32 v81, v69, v68
	v_sub_f32_e32 v92, v97, v95
	;; [unrolled: 1-line block ×3, first 2 shown]
	v_dual_sub_f32 v87, v93, v95 :: v_dual_add_f32 v162, v75, v80
	v_dual_sub_f32 v68, v71, v93 :: v_dual_sub_f32 v71, v93, v71
	v_dual_add_f32 v89, v93, v95 :: v_dual_sub_f32 v106, v103, v105
	v_dual_fmac_f32 v115, v91, v10 :: v_dual_sub_f32 v160, v105, v107
	v_add_f32_e32 v117, v39, v101
	v_sub_f32_e32 v101, v103, v101
	v_dual_add_f32 v161, v32, v74 :: v_dual_sub_f32 v164, v111, v113
	v_sub_f32_e32 v165, v74, v75
	v_add_f32_e32 v167, v74, v88
	v_add_f32_e32 v74, v58, v69
	v_fma_f32 v58, -0.5, v59, v36
	v_sub_f32_e32 v91, v69, v72
	v_sub_f32_e32 v163, v109, v115
	v_add_f32_e32 v175, v77, v78
	v_fma_f32 v36, -0.5, v79, v36
	v_add_f32_e32 v176, v81, v82
	v_fma_f32 v59, -0.5, v89, v37
	;; [unrolled: 2-line block ×4, first 2 shown]
	v_dual_add_f32 v77, v84, v93 :: v_dual_add_f32 v94, v114, v116
	v_add_f32_e32 v92, v71, v96
	v_add_f32_e32 v96, v70, v152
	;; [unrolled: 1-line block ×3, first 2 shown]
	v_fma_f32 v70, -0.5, v162, v32
	v_add_f32_e32 v84, v74, v72
	v_fmamk_f32 v72, v85, 0x3f737871, v58
	v_fmac_f32_e32 v58, 0xbf737871, v85
	v_fma_f32 v32, -0.5, v167, v32
	v_add_f32_e32 v81, v161, v75
	v_dual_sub_f32 v169, v80, v88 :: v_dual_fmamk_f32 v74, v87, 0xbf737871, v36
	s_delay_alu instid0(VALU_DEP_3) | instskip(NEXT) | instid1(VALU_DEP_3)
	v_dual_sub_f32 v151, v73, v76 :: v_dual_fmamk_f32 v82, v164, 0xbf737871, v32
	v_dual_add_f32 v93, v108, v110 :: v_dual_add_f32 v110, v81, v80
	v_dual_add_f32 v171, v111, v113 :: v_dual_fmac_f32 v36, 0x3f737871, v87
	v_sub_f32_e32 v173, v75, v80
	v_fma_f32 v38, -0.5, v112, v38
	v_fmamk_f32 v75, v91, 0x3f737871, v37
	v_dual_fmac_f32 v37, 0xbf737871, v91 :: v_dual_add_f32 v108, v78, v76
	v_fmamk_f32 v73, v90, 0xbf737871, v59
	v_dual_fmac_f32 v59, 0x3f737871, v90 :: v_dual_add_f32 v88, v110, v88
	v_fmac_f32_e32 v74, 0x3f167918, v85
	v_add_f32_e32 v174, v109, v115
	v_add_f32_e32 v79, v117, v103
	v_fma_f32 v69, -0.5, v118, v39
	v_dual_add_f32 v103, v170, v111 :: v_dual_fmac_f32 v32, 0x3f737871, v164
	v_fmamk_f32 v76, v104, 0x3f737871, v68
	v_dual_fmac_f32 v68, 0xbf737871, v104 :: v_dual_add_f32 v95, v77, v95
	v_add_f32_e32 v84, v84, v86
	v_fmamk_f32 v78, v106, 0xbf737871, v38
	v_fmac_f32_e32 v38, 0x3f737871, v106
	v_fmac_f32_e32 v59, 0x3f167918, v91
	;; [unrolled: 1-line block ×3, first 2 shown]
	s_delay_alu instid0(VALU_DEP_4)
	v_dual_fmac_f32 v37, 0x3f167918, v90 :: v_dual_fmac_f32 v78, 0x3f167918, v104
	v_add_f32_e32 v86, v108, v83
	v_dual_fmac_f32 v36, 0xbf167918, v85 :: v_dual_fmac_f32 v73, 0xbf167918, v91
	v_dual_fmac_f32 v74, 0x3e9e377a, v176 :: v_dual_sub_f32 v91, v115, v113
	v_dual_sub_f32 v90, v109, v111 :: v_dual_fmac_f32 v39, -0.5, v158
	v_fmamk_f32 v80, v163, 0x3f737871, v70
	v_fma_f32 v71, -0.5, v171, v33
	v_add_f32_e32 v102, v168, v169
	v_dual_add_f32 v105, v79, v105 :: v_dual_fmac_f32 v72, 0x3f167918, v87
	v_dual_fmamk_f32 v77, v119, 0xbf737871, v69 :: v_dual_add_f32 v90, v90, v91
	v_fmac_f32_e32 v76, 0x3f167918, v106
	v_fmac_f32_e32 v68, 0xbf167918, v106
	v_dual_fmac_f32 v32, 0xbf167918, v163 :: v_dual_fmac_f32 v33, -0.5, v174
	v_fmamk_f32 v79, v151, 0x3f737871, v39
	v_fmac_f32_e32 v39, 0xbf737871, v151
	v_fmac_f32_e32 v69, 0x3f737871, v119
	v_fmamk_f32 v81, v172, 0xbf737871, v71
	v_dual_fmac_f32 v58, 0xbf167918, v87 :: v_dual_add_f32 v85, v95, v97
	v_dual_add_f32 v101, v165, v166 :: v_dual_fmac_f32 v70, 0xbf737871, v163
	v_dual_fmac_f32 v38, 0xbf167918, v104 :: v_dual_add_f32 v87, v105, v107
	v_fmac_f32_e32 v77, 0xbf167918, v151
	v_fmac_f32_e32 v82, 0x3f167918, v163
	;; [unrolled: 1-line block ×3, first 2 shown]
	v_dual_fmac_f32 v75, 0x3e9e377a, v92 :: v_dual_fmac_f32 v76, 0x3e9e377a, v93
	v_dual_fmac_f32 v37, 0x3e9e377a, v92 :: v_dual_fmac_f32 v68, 0x3e9e377a, v93
	v_fmac_f32_e32 v71, 0x3f737871, v172
	v_dual_fmamk_f32 v83, v173, 0x3f737871, v33 :: v_dual_sub_f32 v92, v111, v109
	v_sub_f32_e32 v93, v113, v115
	v_fmac_f32_e32 v33, 0xbf737871, v173
	ds_store_2addr_b64 v154, v[56:57], v[40:41] offset0:26 offset1:39
	v_and_b32_e32 v40, 0xff, v51
	v_dual_fmac_f32 v79, 0xbf167918, v119 :: v_dual_fmac_f32 v70, 0xbf167918, v164
	v_fmac_f32_e32 v39, 0x3f167918, v119
	v_dual_fmac_f32 v69, 0x3f167918, v151 :: v_dual_fmac_f32 v80, 0x3f167918, v164
	v_dual_fmac_f32 v72, 0x3e9e377a, v175 :: v_dual_fmac_f32 v73, 0x3e9e377a, v89
	;; [unrolled: 1-line block ×3, first 2 shown]
	v_add_f32_e32 v89, v103, v113
	v_fmac_f32_e32 v81, 0xbf167918, v173
	v_lshl_add_u32 v160, v53, 3, v156
	v_dual_fmac_f32 v82, 0x3e9e377a, v102 :: v_dual_add_f32 v91, v92, v93
	v_fmac_f32_e32 v71, 0x3f167918, v173
	v_fmac_f32_e32 v83, 0xbf167918, v172
	;; [unrolled: 1-line block ×3, first 2 shown]
	v_lshl_add_u32 v161, v50, 3, v156
	v_dual_fmac_f32 v78, 0x3e9e377a, v94 :: v_dual_fmac_f32 v77, 0x3e9e377a, v96
	v_lshl_add_u32 v162, v40, 3, v156
	v_dual_fmac_f32 v38, 0x3e9e377a, v94 :: v_dual_fmac_f32 v69, 0x3e9e377a, v96
	v_dual_fmac_f32 v79, 0x3e9e377a, v100 :: v_dual_fmac_f32 v80, 0x3e9e377a, v101
	;; [unrolled: 1-line block ×3, first 2 shown]
	v_dual_fmac_f32 v32, 0x3e9e377a, v102 :: v_dual_add_f32 v89, v89, v115
	v_fmac_f32_e32 v81, 0x3e9e377a, v90
	ds_store_2addr_b64 v154, v[34:35], v[66:67] offset0:52 offset1:65
	v_add_nc_u32_e32 v34, 0x800, v160
	v_fmac_f32_e32 v71, 0x3e9e377a, v90
	v_fmac_f32_e32 v83, 0x3e9e377a, v91
	;; [unrolled: 1-line block ×3, first 2 shown]
	ds_store_2addr_b64 v154, v[64:65], v[54:55] offset1:13
	ds_store_2addr_b64 v154, v[60:61], v[62:63] offset0:78 offset1:91
	ds_store_2addr_b64 v154, v[42:43], v[44:45] offset0:104 offset1:117
	;; [unrolled: 1-line block ×8, first 2 shown]
	ds_store_b64 v161, v[58:59] offset:1456
	ds_store_b64 v162, v[68:69] offset:1976
	;; [unrolled: 1-line block ×3, first 2 shown]
	v_lshlrev_b32_e32 v32, 5, v52
	v_lshlrev_b32_e32 v33, 5, v46
	global_wb scope:SCOPE_SE
	s_wait_dscnt 0x0
	s_barrier_signal -1
	s_barrier_wait -1
	global_inv scope:SCOPE_SE
	s_clause 0x4
	global_load_b128 v[56:59], v47, s[0:1] offset:416
	global_load_b128 v[64:67], v47, s[0:1] offset:432
	;; [unrolled: 1-line block ×5, first 2 shown]
	v_lshlrev_b32_e32 v32, 5, v48
	s_clause 0x1
	global_load_b128 v[60:63], v33, s[0:1] offset:432
	global_load_b128 v[36:39], v32, s[0:1] offset:416
	v_lshlrev_b32_e32 v33, 5, v49
	s_clause 0x2
	global_load_b128 v[48:51], v32, s[0:1] offset:432
	global_load_b128 v[44:47], v33, s[0:1] offset:416
	;; [unrolled: 1-line block ×3, first 2 shown]
	ds_load_2addr_b64 v[72:75], v154 offset0:52 offset1:65
	ds_load_2addr_b64 v[80:83], v154 offset0:130 offset1:143
	;; [unrolled: 1-line block ×6, first 2 shown]
	ds_load_2addr_b64 v[94:97], v154 offset1:13
	ds_load_2addr_b64 v[76:79], v154 offset0:26 offset1:39
	ds_load_2addr_b64 v[112:115], v154 offset0:156 offset1:169
	;; [unrolled: 1-line block ×5, first 2 shown]
	ds_load_b64 v[151:152], v154 offset:2496
	s_add_nc_u64 s[0:1], s[12:13], 0xa28
	s_wait_loadcnt_dscnt 0x70b
	v_dual_mul_f32 v92, v75, v57 :: v_dual_mul_f32 v179, v82, v43
	s_wait_loadcnt_dscnt 0x609
	v_mul_f32_e32 v183, v90, v71
	v_dual_mul_f32 v158, v74, v57 :: v_dual_mul_f32 v93, v81, v59
	v_mul_f32_e32 v171, v80, v59
	s_wait_dscnt 0x8
	v_dual_mul_f32 v175, v88, v67 :: v_dual_mul_f32 v176, v105, v41
	v_mul_f32_e32 v178, v83, v43
	s_wait_dscnt 0x7
	v_mul_f32_e32 v180, v109, v69
	v_mul_f32_e32 v182, v91, v71
	s_wait_loadcnt_dscnt 0x102
	v_mul_f32_e32 v200, v166, v45
	s_wait_loadcnt_dscnt 0x1
	v_mul_f32_e32 v102, v169, v33
	v_mul_f32_e32 v181, v108, v69
	v_mul_f32_e32 v184, v107, v53
	v_dual_mul_f32 v100, v165, v45 :: v_dual_fmac_f32 v179, v83, v42
	s_delay_alu instid0(VALU_DEP_4) | instskip(NEXT) | instid1(VALU_DEP_4)
	v_fmac_f32_e32 v102, v170, v32
	v_dual_fmac_f32 v181, v109, v68 :: v_dual_mul_f32 v172, v87, v65
	v_dual_mul_f32 v173, v86, v65 :: v_dual_mul_f32 v174, v89, v67
	s_delay_alu instid0(VALU_DEP_4)
	v_dual_mul_f32 v177, v104, v41 :: v_dual_fmac_f32 v100, v166, v44
	v_mul_f32_e32 v186, v113, v55
	v_mul_f32_e32 v188, v111, v61
	;; [unrolled: 1-line block ×4, first 2 shown]
	v_fma_f32 v74, v74, v56, -v92
	v_fmac_f32_e32 v158, v75, v56
	v_fma_f32 v75, v80, v58, -v93
	v_fmac_f32_e32 v175, v89, v66
	v_fma_f32 v80, v104, v40, -v176
	v_fma_f32 v89, v108, v68, -v180
	v_dual_add_f32 v180, v179, v181 :: v_dual_fmac_f32 v171, v81, v58
	v_fma_f32 v81, v82, v42, -v178
	v_fma_f32 v92, v90, v70, -v182
	;; [unrolled: 1-line block ×3, first 2 shown]
	v_dual_mul_f32 v187, v112, v55 :: v_dual_mul_f32 v202, v170, v33
	v_mul_f32_e32 v189, v110, v61
	v_mul_f32_e32 v191, v116, v63
	v_dual_mul_f32 v193, v163, v37 :: v_dual_sub_f32 v166, v158, v175
	v_mul_f32_e32 v194, v115, v39
	v_dual_mul_f32 v195, v114, v39 :: v_dual_mul_f32 v196, v168, v49
	v_mul_f32_e32 v198, v119, v51
	v_mul_f32_e32 v201, v85, v47
	s_wait_dscnt 0x0
	v_mul_f32_e32 v103, v151, v35
	v_fma_f32 v86, v86, v64, -v172
	v_fma_f32 v88, v88, v66, -v174
	v_mul_f32_e32 v185, v106, v53
	v_dual_fmac_f32 v183, v91, v70 :: v_dual_sub_f32 v182, v80, v92
	v_fma_f32 v83, v112, v54, -v186
	v_fma_f32 v90, v110, v60, -v188
	;; [unrolled: 1-line block ×4, first 2 shown]
	v_dual_add_f32 v116, v158, v175 :: v_dual_fmac_f32 v173, v87, v64
	v_dual_add_f32 v192, v76, v82 :: v_dual_fmac_f32 v177, v105, v40
	v_sub_f32_e32 v186, v183, v181
	v_mul_f32_e32 v197, v167, v49
	v_mul_f32_e32 v199, v118, v51
	v_dual_mul_f32 v101, v84, v47 :: v_dual_sub_f32 v170, v89, v92
	v_dual_mul_f32 v203, v152, v35 :: v_dual_add_f32 v178, v97, v177
	v_fmac_f32_e32 v187, v113, v54
	v_fma_f32 v172, v114, v38, -v194
	v_fma_f32 v174, v167, v48, -v196
	;; [unrolled: 1-line block ×4, first 2 shown]
	v_sub_f32_e32 v200, v82, v83
	v_dual_sub_f32 v108, v88, v86 :: v_dual_fmac_f32 v185, v107, v52
	v_dual_sub_f32 v107, v74, v75 :: v_dual_add_f32 v194, v83, v90
	v_sub_f32_e32 v110, v75, v74
	v_dual_fmac_f32 v189, v111, v60 :: v_dual_sub_f32 v184, v81, v89
	v_dual_add_f32 v109, v74, v88 :: v_dual_add_f32 v112, v95, v158
	v_dual_fmac_f32 v195, v115, v38 :: v_dual_add_f32 v188, v177, v183
	v_dual_sub_f32 v114, v158, v171 :: v_dual_add_f32 v113, v171, v173
	v_dual_sub_f32 v218, v176, v174 :: v_dual_sub_f32 v115, v175, v173
	v_sub_f32_e32 v220, v172, v106
	v_dual_sub_f32 v118, v173, v175 :: v_dual_fmac_f32 v193, v164, v36
	v_add_f32_e32 v164, v80, v92
	v_dual_fmac_f32 v103, v152, v34 :: v_dual_sub_f32 v204, v90, v91
	v_sub_f32_e32 v152, v80, v81
	v_fma_f32 v87, v84, v46, -v201
	v_add_f32_e32 v84, v94, v74
	v_dual_fmac_f32 v191, v117, v62 :: v_dual_sub_f32 v198, v187, v189
	v_dual_sub_f32 v117, v171, v158 :: v_dual_sub_f32 v224, v106, v176
	v_fmac_f32_e32 v101, v85, v46
	v_fma_f32 v104, v169, v32, -v202
	v_add_f32_e32 v202, v82, v91
	v_fma_f32 v105, v151, v34, -v203
	v_dual_add_f32 v85, v75, v86 :: v_dual_sub_f32 v212, v189, v191
	v_dual_sub_f32 v111, v86, v88 :: v_dual_sub_f32 v208, v83, v90
	v_sub_f32_e32 v74, v74, v88
	v_dual_fmac_f32 v197, v168, v48 :: v_dual_sub_f32 v190, v181, v183
	v_dual_sub_f32 v168, v75, v86 :: v_dual_add_f32 v151, v81, v89
	v_dual_sub_f32 v158, v177, v183 :: v_dual_fmac_f32 v199, v119, v50
	v_dual_sub_f32 v196, v185, v191 :: v_dual_add_f32 v119, v96, v80
	v_sub_f32_e32 v210, v191, v189
	v_dual_sub_f32 v169, v179, v181 :: v_dual_add_f32 v226, v114, v115
	v_dual_sub_f32 v165, v81, v80 :: v_dual_sub_f32 v216, v195, v197
	v_sub_f32_e32 v80, v177, v179
	v_dual_add_f32 v206, v187, v189 :: v_dual_sub_f32 v207, v82, v91
	v_add_f32_e32 v222, v79, v193
	v_sub_f32_e32 v203, v83, v82
	v_add_f32_e32 v225, v107, v108
	v_fma_f32 v108, -0.5, v109, v94
	v_fma_f32 v107, -0.5, v113, v95
	;; [unrolled: 1-line block ×4, first 2 shown]
	v_add_f32_e32 v95, v117, v118
	v_add_f32_e32 v117, v178, v179
	v_dual_sub_f32 v167, v171, v173 :: v_dual_add_f32 v214, v172, v174
	v_dual_sub_f32 v163, v92, v89 :: v_dual_add_f32 v228, v165, v170
	;; [unrolled: 1-line block ×3, first 2 shown]
	s_delay_alu instid0(VALU_DEP_3)
	v_dual_add_f32 v213, v78, v106 :: v_dual_fmamk_f32 v114, v167, 0xbf737871, v108
	v_dual_sub_f32 v217, v106, v172 :: v_dual_fmac_f32 v108, 0x3f737871, v167
	v_dual_add_f32 v171, v112, v171 :: v_dual_add_f32 v170, v117, v181
	v_add_f32_e32 v219, v106, v176
	v_fma_f32 v106, -0.5, v85, v94
	v_add_f32_e32 v94, v110, v111
	v_fma_f32 v110, -0.5, v151, v96
	v_add_f32_e32 v211, v185, v191
	v_sub_f32_e32 v215, v193, v199
	v_sub_f32_e32 v221, v174, v176
	v_add_f32_e32 v223, v195, v197
	v_fma_f32 v96, -0.5, v164, v96
	v_add_f32_e32 v75, v84, v75
	v_fma_f32 v111, -0.5, v180, v97
	v_fma_f32 v84, -0.5, v214, v78
	v_fmamk_f32 v112, v166, 0x3f737871, v106
	v_fmamk_f32 v118, v169, 0xbf737871, v96
	v_dual_add_f32 v165, v213, v172 :: v_dual_fmac_f32 v106, 0xbf737871, v166
	v_dual_fmac_f32 v97, -0.5, v188 :: v_dual_add_f32 v188, v222, v195
	v_dual_add_f32 v205, v77, v185 :: v_dual_add_f32 v180, v203, v204
	v_dual_add_f32 v89, v116, v89 :: v_dual_fmac_f32 v108, 0xbf167918, v166
	v_fmamk_f32 v116, v158, 0x3f737871, v110
	v_dual_fmac_f32 v110, 0xbf737871, v158 :: v_dual_sub_f32 v177, v179, v177
	v_add_f32_e32 v178, v80, v186
	v_sub_f32_e32 v201, v91, v90
	v_dual_sub_f32 v185, v187, v185 :: v_dual_add_f32 v186, v209, v210
	v_fma_f32 v80, -0.5, v202, v76
	v_add_f32_e32 v76, v205, v187
	v_fma_f32 v81, -0.5, v211, v77
	v_add_f32_e32 v75, v75, v86
	v_add_f32_e32 v86, v171, v173
	v_fma_f32 v78, -0.5, v219, v78
	v_add_f32_e32 v151, v192, v83
	v_fma_f32 v83, -0.5, v206, v77
	v_dual_fmac_f32 v112, 0x3f167918, v167 :: v_dual_add_f32 v181, v165, v174
	v_fmac_f32_e32 v110, 0xbf167918, v169
	v_fmamk_f32 v115, v168, 0x3f737871, v109
	v_fmac_f32_e32 v109, 0xbf737871, v168
	v_add_f32_e32 v227, v152, v163
	v_dual_add_f32 v177, v177, v190 :: v_dual_fmamk_f32 v164, v208, 0x3f737871, v81
	v_add_f32_e32 v179, v200, v201
	v_add_f32_e32 v77, v185, v212
	v_dual_add_f32 v187, v220, v221 :: v_dual_fmac_f32 v114, 0x3f167918, v166
	v_fmac_f32_e32 v96, 0x3f737871, v169
	v_fmamk_f32 v163, v198, 0xbf737871, v80
	v_dual_fmac_f32 v80, 0x3f737871, v198 :: v_dual_add_f32 v173, v76, v189
	v_fmac_f32_e32 v118, 0x3f167918, v158
	v_fmamk_f32 v113, v74, 0xbf737871, v107
	v_fmac_f32_e32 v107, 0x3f737871, v74
	v_fmamk_f32 v152, v207, 0xbf737871, v83
	v_dual_fmac_f32 v81, 0xbf737871, v208 :: v_dual_fmamk_f32 v76, v216, 0xbf737871, v78
	v_dual_fmac_f32 v78, 0x3f737871, v216 :: v_dual_add_f32 v171, v151, v90
	v_fmac_f32_e32 v116, 0x3f167918, v169
	v_dual_fmamk_f32 v90, v215, 0x3f737871, v84 :: v_dual_fmamk_f32 v119, v184, 0x3f737871, v97
	v_fmac_f32_e32 v84, 0xbf737871, v215
	v_dual_add_f32 v166, v86, v175 :: v_dual_add_f32 v165, v75, v88
	v_fmac_f32_e32 v96, 0xbf167918, v158
	s_delay_alu instid0(VALU_DEP_4)
	v_dual_fmac_f32 v109, 0x3f167918, v74 :: v_dual_fmac_f32 v90, 0x3f167918, v216
	v_dual_add_f32 v88, v181, v176 :: v_dual_fmac_f32 v115, 0xbf167918, v74
	v_fmac_f32_e32 v80, 0xbf167918, v196
	v_dual_add_f32 v74, v188, v197 :: v_dual_add_f32 v185, v217, v218
	v_dual_fmac_f32 v106, 0xbf167918, v167 :: v_dual_add_f32 v167, v89, v92
	v_fmac_f32_e32 v164, 0xbf167918, v207
	v_dual_add_f32 v169, v171, v91 :: v_dual_fmac_f32 v84, 0xbf167918, v216
	s_delay_alu instid0(VALU_DEP_4)
	v_dual_fmac_f32 v152, 0xbf167918, v208 :: v_dual_add_f32 v89, v74, v199
	v_dual_sub_f32 v74, v195, v193 :: v_dual_fmac_f32 v119, 0xbf167918, v182
	v_sub_f32_e32 v158, v100, v103
	v_fmac_f32_e32 v81, 0x3f167918, v207
	v_dual_fmamk_f32 v117, v182, 0xbf737871, v111 :: v_dual_sub_f32 v86, v172, v174
	v_dual_fmac_f32 v111, 0x3f737871, v182 :: v_dual_sub_f32 v92, v199, v197
	v_dual_fmac_f32 v107, 0x3f167918, v168 :: v_dual_fmac_f32 v76, 0x3f167918, v215
	s_delay_alu instid0(VALU_DEP_4)
	v_dual_fmac_f32 v152, 0x3e9e377a, v186 :: v_dual_fmac_f32 v81, 0x3e9e377a, v77
	v_dual_fmac_f32 v164, 0x3e9e377a, v77 :: v_dual_add_f32 v75, v193, v199
	v_dual_fmac_f32 v84, 0x3e9e377a, v185 :: v_dual_sub_f32 v77, v193, v195
	v_fma_f32 v85, -0.5, v223, v79
	v_fmac_f32_e32 v97, 0xbf737871, v184
	v_fmamk_f32 v151, v196, 0x3f737871, v82
	v_fmac_f32_e32 v82, 0xbf737871, v196
	v_dual_fmac_f32 v117, 0xbf167918, v184 :: v_dual_fmac_f32 v78, 0xbf167918, v215
	v_dual_fmac_f32 v114, 0x3e9e377a, v94 :: v_dual_fmac_f32 v115, 0x3e9e377a, v95
	;; [unrolled: 1-line block ×3, first 2 shown]
	v_fmac_f32_e32 v76, 0x3e9e377a, v187
	v_fmac_f32_e32 v79, -0.5, v75
	v_add_f32_e32 v75, v77, v92
	v_sub_f32_e32 v92, v197, v199
	v_add_f32_e32 v94, v87, v104
	v_dual_fmac_f32 v78, 0x3e9e377a, v187 :: v_dual_sub_f32 v171, v101, v102
	v_fmamk_f32 v77, v86, 0x3f737871, v79
	s_delay_alu instid0(VALU_DEP_4) | instskip(NEXT) | instid1(VALU_DEP_4)
	v_add_f32_e32 v95, v74, v92
	v_fma_f32 v74, -0.5, v94, v72
	v_fmamk_f32 v91, v224, 0xbf737871, v85
	v_fmac_f32_e32 v85, 0x3f737871, v224
	v_fmac_f32_e32 v83, 0x3f737871, v207
	;; [unrolled: 1-line block ×3, first 2 shown]
	v_fmamk_f32 v92, v158, 0x3f737871, v74
	v_fmac_f32_e32 v74, 0xbf737871, v158
	v_fmac_f32_e32 v91, 0xbf167918, v86
	v_dual_fmac_f32 v85, 0x3f167918, v86 :: v_dual_add_f32 v86, v72, v93
	v_fmac_f32_e32 v111, 0x3f167918, v184
	v_dual_fmac_f32 v97, 0x3f167918, v182 :: v_dual_sub_f32 v94, v105, v104
	v_dual_fmac_f32 v151, 0x3f167918, v198 :: v_dual_add_f32 v172, v93, v105
	s_delay_alu instid0(VALU_DEP_4)
	v_fmac_f32_e32 v85, 0x3e9e377a, v75
	v_fmac_f32_e32 v74, 0xbf167918, v171
	;; [unrolled: 1-line block ×3, first 2 shown]
	v_add_f32_e32 v75, v86, v87
	v_dual_sub_f32 v86, v93, v87 :: v_dual_fmac_f32 v163, 0x3f167918, v196
	v_dual_fmac_f32 v92, 0x3f167918, v171 :: v_dual_fmac_f32 v83, 0x3f167918, v208
	v_fma_f32 v72, -0.5, v172, v72
	s_delay_alu instid0(VALU_DEP_3) | instskip(SKIP_3) | instid1(VALU_DEP_4)
	v_dual_add_f32 v94, v86, v94 :: v_dual_fmac_f32 v113, 0xbf167918, v168
	v_fmac_f32_e32 v82, 0xbf167918, v198
	v_add_f32_e32 v168, v170, v183
	v_add_f32_e32 v170, v173, v191
	v_fmac_f32_e32 v92, 0x3e9e377a, v94
	v_fmac_f32_e32 v74, 0x3e9e377a, v94
	v_fmamk_f32 v94, v171, 0xbf737871, v72
	v_fmac_f32_e32 v72, 0x3f737871, v171
	v_fmac_f32_e32 v77, 0xbf167918, v224
	v_dual_fmac_f32 v79, 0x3f167918, v224 :: v_dual_sub_f32 v172, v87, v93
	s_delay_alu instid0(VALU_DEP_4) | instskip(NEXT) | instid1(VALU_DEP_4)
	v_fmac_f32_e32 v94, 0x3f167918, v158
	v_dual_fmac_f32 v72, 0xbf167918, v158 :: v_dual_add_f32 v75, v75, v104
	s_delay_alu instid0(VALU_DEP_4) | instskip(NEXT) | instid1(VALU_DEP_4)
	v_fmac_f32_e32 v77, 0x3e9e377a, v95
	v_fmac_f32_e32 v79, 0x3e9e377a, v95
	v_add_f32_e32 v95, v101, v102
	v_sub_f32_e32 v173, v104, v105
	v_dual_add_f32 v86, v75, v105 :: v_dual_add_f32 v75, v73, v100
	v_dual_sub_f32 v104, v87, v104 :: v_dual_sub_f32 v105, v93, v105
	v_dual_fmac_f32 v112, 0x3e9e377a, v225 :: v_dual_fmac_f32 v113, 0x3e9e377a, v226
	s_delay_alu instid0(VALU_DEP_3) | instskip(SKIP_3) | instid1(VALU_DEP_4)
	v_add_f32_e32 v171, v75, v101
	v_fma_f32 v75, -0.5, v95, v73
	v_dual_add_f32 v95, v172, v173 :: v_dual_fmac_f32 v116, 0x3e9e377a, v227
	v_fmac_f32_e32 v117, 0x3e9e377a, v178
	v_dual_add_f32 v158, v171, v102 :: v_dual_add_f32 v171, v100, v103
	s_delay_alu instid0(VALU_DEP_3) | instskip(SKIP_2) | instid1(VALU_DEP_4)
	v_fmac_f32_e32 v94, 0x3e9e377a, v95
	v_fmac_f32_e32 v72, 0x3e9e377a, v95
	v_fmamk_f32 v93, v105, 0xbf737871, v75
	v_add_f32_e32 v87, v158, v103
	v_dual_fmac_f32 v73, -0.5, v171 :: v_dual_sub_f32 v158, v100, v101
	v_dual_sub_f32 v171, v103, v102 :: v_dual_sub_f32 v100, v101, v100
	v_sub_f32_e32 v101, v102, v103
	s_delay_alu instid0(VALU_DEP_3) | instskip(SKIP_1) | instid1(VALU_DEP_4)
	v_fmamk_f32 v95, v104, 0x3f737871, v73
	v_fmac_f32_e32 v73, 0xbf737871, v104
	v_dual_fmac_f32 v75, 0x3f737871, v105 :: v_dual_add_f32 v102, v158, v171
	s_delay_alu instid0(VALU_DEP_4) | instskip(NEXT) | instid1(VALU_DEP_4)
	v_add_f32_e32 v100, v100, v101
	v_fmac_f32_e32 v95, 0xbf167918, v105
	s_delay_alu instid0(VALU_DEP_4)
	v_fmac_f32_e32 v73, 0x3f167918, v105
	v_lshl_add_u32 v158, v155, 3, v156
	v_fmac_f32_e32 v93, 0xbf167918, v104
	v_fmac_f32_e32 v75, 0x3f167918, v104
	v_dual_fmac_f32 v151, 0x3e9e377a, v179 :: v_dual_fmac_f32 v80, 0x3e9e377a, v180
	v_dual_fmac_f32 v118, 0x3e9e377a, v228 :: v_dual_fmac_f32 v119, 0x3e9e377a, v177
	;; [unrolled: 1-line block ×4, first 2 shown]
	v_fmac_f32_e32 v95, 0x3e9e377a, v100
	v_fmac_f32_e32 v73, 0x3e9e377a, v100
	v_add_nc_u32_e32 v100, 0x800, v158
	v_dual_fmac_f32 v96, 0x3e9e377a, v228 :: v_dual_fmac_f32 v97, 0x3e9e377a, v177
	v_dual_fmac_f32 v106, 0x3e9e377a, v225 :: v_dual_fmac_f32 v107, 0x3e9e377a, v226
	;; [unrolled: 1-line block ×3, first 2 shown]
	v_fmac_f32_e32 v93, 0x3e9e377a, v102
	v_fmac_f32_e32 v75, 0x3e9e377a, v102
	ds_store_b64 v154, v[165:166]
	ds_store_2addr_b64 v158, v[112:113], v[116:117] offset0:65 offset1:78
	ds_store_2addr_b64 v158, v[114:115], v[118:119] offset0:130 offset1:143
	;; [unrolled: 1-line block ×7, first 2 shown]
	v_add_nc_u32_e32 v112, 0x400, v154
	ds_store_2addr_b64 v158, v[80:81], v[78:79] offset0:221 offset1:234
	ds_store_2addr_b64 v100, v[82:83], v[84:85] offset0:30 offset1:43
	;; [unrolled: 1-line block ×5, first 2 shown]
	global_wb scope:SCOPE_SE
	s_wait_dscnt 0x0
	s_barrier_signal -1
	s_barrier_wait -1
	global_inv scope:SCOPE_SE
	s_clause 0xc
	global_load_b64 v[96:97], v[120:121], off offset:2600
	global_load_b64 v[117:118], v98, s[0:1] offset:200
	global_load_b64 v[151:152], v98, s[0:1] offset:400
	global_load_b64 v[171:172], v98, s[0:1] offset:600
	global_load_b64 v[173:174], v98, s[0:1] offset:800
	global_load_b64 v[175:176], v98, s[0:1] offset:1000
	global_load_b64 v[177:178], v98, s[0:1] offset:1200
	global_load_b64 v[179:180], v98, s[0:1] offset:1400
	global_load_b64 v[181:182], v98, s[0:1] offset:1600
	global_load_b64 v[183:184], v98, s[0:1] offset:1800
	global_load_b64 v[185:186], v98, s[0:1] offset:2000
	global_load_b64 v[187:188], v98, s[0:1] offset:2200
	global_load_b64 v[189:190], v98, s[0:1] offset:2400
	ds_load_2addr_b64 v[100:103], v154 offset1:25
	ds_load_2addr_b64 v[104:107], v154 offset0:50 offset1:75
	ds_load_2addr_b64 v[108:111], v154 offset0:100 offset1:125
	;; [unrolled: 1-line block ×5, first 2 shown]
	ds_load_b64 v[191:192], v154 offset:2400
	s_wait_loadcnt_dscnt 0xa05
	v_mul_f32_e32 v196, v105, v152
	v_mul_f32_e32 v194, v104, v152
	s_wait_loadcnt 0x9
	v_mul_f32_e32 v197, v107, v172
	v_mul_f32_e32 v152, v106, v172
	s_wait_loadcnt_dscnt 0x804
	v_mul_f32_e32 v198, v109, v174
	s_wait_loadcnt 0x7
	v_dual_mul_f32 v172, v108, v174 :: v_dual_mul_f32 v199, v111, v176
	v_mul_f32_e32 v174, v110, v176
	s_wait_loadcnt_dscnt 0x603
	v_mul_f32_e32 v200, v114, v178
	v_mul_f32_e32 v176, v113, v178
	;; [unrolled: 1-line block ×3, first 2 shown]
	s_wait_loadcnt 0x5
	v_mul_f32_e32 v201, v116, v180
	v_dual_mul_f32 v178, v115, v180 :: v_dual_mul_f32 v193, v101, v97
	s_wait_loadcnt_dscnt 0x402
	v_mul_f32_e32 v202, v164, v182
	v_mul_f32_e32 v180, v163, v182
	s_wait_loadcnt 0x3
	v_mul_f32_e32 v182, v165, v184
	v_fmac_f32_e32 v178, v116, v179
	v_mul_f32_e32 v119, v100, v97
	v_dual_mul_f32 v97, v102, v118 :: v_dual_fmac_f32 v180, v164, v181
	s_wait_loadcnt_dscnt 0x201
	v_dual_mul_f32 v203, v166, v184 :: v_dual_mul_f32 v184, v167, v186
	v_mul_f32_e32 v204, v168, v186
	s_wait_loadcnt 0x1
	v_mul_f32_e32 v186, v169, v188
	s_wait_loadcnt_dscnt 0x0
	v_dual_mul_f32 v205, v170, v188 :: v_dual_mul_f32 v188, v191, v190
	v_mul_f32_e32 v206, v192, v190
	v_fma_f32 v118, v100, v96, -v193
	v_fmac_f32_e32 v97, v103, v117
	v_fmac_f32_e32 v176, v114, v177
	;; [unrolled: 1-line block ×3, first 2 shown]
	v_dual_fmac_f32 v182, v166, v183 :: v_dual_fmac_f32 v119, v101, v96
	v_fma_f32 v96, v102, v117, -v195
	v_fma_f32 v193, v104, v151, -v196
	v_fmac_f32_e32 v194, v105, v151
	v_fmac_f32_e32 v152, v107, v171
	;; [unrolled: 1-line block ×3, first 2 shown]
	v_fma_f32 v151, v106, v171, -v197
	v_fma_f32 v171, v108, v173, -v198
	v_fmac_f32_e32 v172, v109, v173
	v_fmac_f32_e32 v174, v111, v175
	;; [unrolled: 1-line block ×3, first 2 shown]
	v_fma_f32 v173, v110, v175, -v199
	v_fma_f32 v175, v113, v177, -v200
	;; [unrolled: 1-line block ×8, first 2 shown]
	ds_store_2addr_b64 v154, v[118:119], v[96:97] offset1:25
	ds_store_2addr_b64 v154, v[193:194], v[151:152] offset0:50 offset1:75
	ds_store_2addr_b64 v154, v[171:172], v[173:174] offset0:100 offset1:125
	;; [unrolled: 1-line block ×5, first 2 shown]
	ds_store_b64 v154, v[187:188] offset:2400
	s_and_saveexec_b32 s2, vcc_lo
	s_cbranch_execz .LBB0_9
; %bb.8:
	s_wait_alu 0xfffe
	v_add_co_u32 v96, s0, s0, v98
	s_wait_alu 0xf1ff
	v_add_co_ci_u32_e64 v97, null, s1, 0, s0
	s_clause 0xc
	global_load_b64 v[100:101], v[96:97], off offset:104
	global_load_b64 v[117:118], v[96:97], off offset:304
	;; [unrolled: 1-line block ×13, first 2 shown]
	ds_load_b64 v[102:103], v158 offset:104
	s_wait_loadcnt_dscnt 0xc00
	v_mul_f32_e32 v98, v103, v101
	v_mul_f32_e32 v105, v102, v101
	s_delay_alu instid0(VALU_DEP_2) | instskip(NEXT) | instid1(VALU_DEP_2)
	v_fma_f32 v104, v102, v100, -v98
	v_fmac_f32_e32 v105, v103, v100
	ds_store_b64 v158, v[104:105] offset:104
	ds_load_2addr_b64 v[100:103], v154 offset0:38 offset1:63
	ds_load_2addr_b64 v[104:107], v154 offset0:88 offset1:113
	;; [unrolled: 1-line block ×6, first 2 shown]
	s_wait_loadcnt_dscnt 0xb05
	v_mul_f32_e32 v119, v101, v118
	s_wait_loadcnt 0xa
	v_dual_mul_f32 v98, v100, v118 :: v_dual_mul_f32 v189, v103, v152
	s_wait_loadcnt_dscnt 0x804
	v_dual_mul_f32 v118, v102, v152 :: v_dual_mul_f32 v191, v107, v174
	s_wait_loadcnt_dscnt 0x603
	;; [unrolled: 2-line block ×3, first 2 shown]
	v_dual_mul_f32 v152, v104, v172 :: v_dual_mul_f32 v197, v166, v186
	v_mul_f32_e32 v172, v106, v174
	v_dual_mul_f32 v192, v109, v176 :: v_dual_mul_f32 v195, v116, v182
	s_wait_loadcnt_dscnt 0x0
	v_dual_mul_f32 v174, v108, v176 :: v_dual_mul_f32 v199, v170, v97
	v_mul_f32_e32 v176, v110, v178
	v_mul_f32_e32 v194, v114, v180
	;; [unrolled: 1-line block ×10, first 2 shown]
	v_fma_f32 v97, v100, v117, -v119
	v_fmac_f32_e32 v98, v101, v117
	v_fma_f32 v117, v102, v151, -v189
	v_fmac_f32_e32 v118, v103, v151
	;; [unrolled: 2-line block ×12, first 2 shown]
	ds_store_2addr_b64 v154, v[97:98], v[117:118] offset0:38 offset1:63
	ds_store_2addr_b64 v154, v[151:152], v[171:172] offset0:88 offset1:113
	ds_store_2addr_b64 v154, v[173:174], v[175:176] offset0:138 offset1:163
	ds_store_2addr_b64 v154, v[177:178], v[179:180] offset0:188 offset1:213
	ds_store_2addr_b64 v112, v[181:182], v[183:184] offset0:110 offset1:135
	ds_store_2addr_b64 v99, v[185:186], v[187:188] offset0:32 offset1:57
.LBB0_9:
	s_wait_alu 0xfffe
	s_or_b32 exec_lo, exec_lo, s2
	global_wb scope:SCOPE_SE
	s_wait_dscnt 0x0
	s_barrier_signal -1
	s_barrier_wait -1
	global_inv scope:SCOPE_SE
	ds_load_2addr_b64 v[116:119], v154 offset1:25
	ds_load_2addr_b64 v[108:111], v154 offset0:50 offset1:75
	ds_load_2addr_b64 v[100:103], v154 offset0:100 offset1:125
	;; [unrolled: 1-line block ×5, first 2 shown]
	ds_load_b64 v[151:152], v154 offset:2400
	s_and_saveexec_b32 s0, vcc_lo
	s_cbranch_execz .LBB0_11
; %bb.10:
	v_add_nc_u32_e32 v72, 0x800, v158
	ds_load_2addr_b64 v[80:83], v158 offset0:13 offset1:38
	ds_load_2addr_b64 v[88:91], v158 offset0:63 offset1:88
	;; [unrolled: 1-line block ×6, first 2 shown]
	ds_load_b64 v[149:150], v158 offset:2504
.LBB0_11:
	s_wait_alu 0xfffe
	s_or_b32 exec_lo, exec_lo, s0
	s_wait_dscnt 0x6
	v_dual_add_f32 v164, v116, v118 :: v_dual_add_f32 v165, v117, v119
	v_add_nc_u32_e32 v163, 0x1a0, v154
	s_wait_dscnt 0x0
	v_add_f32_e32 v166, v151, v118
	v_dual_sub_f32 v167, v119, v152 :: v_dual_add_f32 v168, v152, v119
	v_dual_add_f32 v164, v164, v108 :: v_dual_add_f32 v165, v165, v109
	v_sub_f32_e32 v169, v118, v151
	global_wb scope:SCOPE_SE
	s_barrier_signal -1
	v_dual_add_f32 v118, v164, v110 :: v_dual_add_f32 v119, v165, v111
	s_barrier_wait -1
	global_inv scope:SCOPE_SE
	v_mul_f32_e32 v182, 0xbf29c268, v167
	v_add_f32_e32 v118, v118, v100
	v_dual_mul_f32 v164, 0xbeedf032, v167 :: v_dual_add_f32 v119, v119, v101
	v_mul_f32_e32 v165, 0x3f62ad3f, v168
	s_delay_alu instid0(VALU_DEP_4) | instskip(NEXT) | instid1(VALU_DEP_4)
	v_fmamk_f32 v184, v166, 0xbf3f9e67, v182
	v_add_f32_e32 v118, v118, v102
	v_fma_f32 v182, 0xbf3f9e67, v166, -v182
	s_delay_alu instid0(VALU_DEP_4) | instskip(SKIP_1) | instid1(VALU_DEP_4)
	v_dual_add_f32 v119, v119, v103 :: v_dual_fmamk_f32 v176, v169, 0x3eedf032, v165
	v_mul_f32_e32 v170, 0xbf52af12, v167
	v_dual_add_f32 v118, v118, v96 :: v_dual_fmac_f32 v165, 0xbeedf032, v169
	s_delay_alu instid0(VALU_DEP_3) | instskip(SKIP_2) | instid1(VALU_DEP_3)
	v_add_f32_e32 v119, v119, v97
	v_mul_f32_e32 v171, 0x3f116cb1, v168
	v_dual_fmamk_f32 v175, v166, 0x3f62ad3f, v164 :: v_dual_add_f32 v176, v117, v176
	v_dual_add_f32 v118, v118, v98 :: v_dual_add_f32 v119, v119, v99
	s_delay_alu instid0(VALU_DEP_3) | instskip(SKIP_1) | instid1(VALU_DEP_3)
	v_fmamk_f32 v178, v169, 0x3f52af12, v171
	v_mul_f32_e32 v172, 0xbf7e222b, v167
	v_dual_fmac_f32 v171, 0xbf52af12, v169 :: v_dual_add_f32 v118, v118, v104
	v_mul_f32_e32 v173, 0x3df6dbef, v168
	v_add_f32_e32 v119, v119, v105
	v_fma_f32 v164, 0x3f62ad3f, v166, -v164
	v_fmamk_f32 v177, v166, 0x3f116cb1, v170
	v_add_f32_e32 v118, v118, v106
	s_delay_alu instid0(VALU_DEP_4) | instskip(SKIP_1) | instid1(VALU_DEP_3)
	v_dual_fmamk_f32 v180, v169, 0x3f7e222b, v173 :: v_dual_add_f32 v119, v119, v107
	v_mul_f32_e32 v174, 0xbf6f5d39, v167
	v_dual_add_f32 v175, v116, v175 :: v_dual_add_f32 v118, v118, v112
	v_fma_f32 v170, 0x3f116cb1, v166, -v170
	s_delay_alu instid0(VALU_DEP_4) | instskip(SKIP_2) | instid1(VALU_DEP_3)
	v_add_f32_e32 v119, v119, v113
	v_add_f32_e32 v165, v117, v165
	v_dual_fmamk_f32 v179, v166, 0x3df6dbef, v172 :: v_dual_add_f32 v178, v117, v178
	v_dual_add_f32 v118, v118, v114 :: v_dual_add_f32 v119, v119, v115
	v_add_f32_e32 v170, v116, v170
	v_fma_f32 v172, 0x3df6dbef, v166, -v172
	v_add_f32_e32 v164, v116, v164
	s_delay_alu instid0(VALU_DEP_4)
	v_dual_add_f32 v177, v116, v177 :: v_dual_add_f32 v118, v118, v151
	v_add_f32_e32 v171, v117, v171
	v_add_f32_e32 v119, v119, v152
	v_dual_fmac_f32 v173, 0xbf7e222b, v169 :: v_dual_add_f32 v172, v116, v172
	v_dual_fmamk_f32 v151, v166, 0xbeb58ec6, v174 :: v_dual_mul_f32 v152, 0xbeb58ec6, v168
	v_fma_f32 v174, 0xbeb58ec6, v166, -v174
	s_delay_alu instid0(VALU_DEP_3) | instskip(SKIP_1) | instid1(VALU_DEP_4)
	v_add_f32_e32 v173, v117, v173
	v_dual_mul_f32 v183, 0xbf3f9e67, v168 :: v_dual_add_f32 v182, v116, v182
	v_dual_fmamk_f32 v181, v169, 0x3f6f5d39, v152 :: v_dual_add_f32 v184, v116, v184
	v_fmac_f32_e32 v152, 0xbf6f5d39, v169
	v_add_f32_e32 v174, v116, v174
	v_add_f32_e32 v151, v116, v151
	v_mul_f32_e32 v167, 0xbe750f2a, v167
	v_add_f32_e32 v181, v117, v181
	v_add_f32_e32 v152, v117, v152
	v_dual_mul_f32 v168, 0xbf788fa5, v168 :: v_dual_sub_f32 v187, v109, v115
	s_delay_alu instid0(VALU_DEP_4) | instskip(SKIP_2) | instid1(VALU_DEP_4)
	v_fmamk_f32 v186, v166, 0xbf788fa5, v167
	v_fmamk_f32 v185, v169, 0x3f29c268, v183
	v_fmac_f32_e32 v183, 0xbf29c268, v169
	v_dual_fmamk_f32 v188, v169, 0x3e750f2a, v168 :: v_dual_add_f32 v189, v114, v108
	s_delay_alu instid0(VALU_DEP_3)
	v_dual_add_f32 v186, v116, v186 :: v_dual_add_f32 v185, v117, v185
	v_add_f32_e32 v109, v115, v109
	v_fmac_f32_e32 v168, 0xbe750f2a, v169
	v_mul_f32_e32 v190, 0xbf52af12, v187
	v_fma_f32 v115, 0xbf788fa5, v166, -v167
	v_dual_sub_f32 v108, v108, v114 :: v_dual_add_f32 v183, v117, v183
	v_dual_mul_f32 v166, 0x3f116cb1, v109 :: v_dual_add_f32 v179, v116, v179
	v_add_f32_e32 v180, v117, v180
	s_delay_alu instid0(VALU_DEP_4) | instskip(SKIP_1) | instid1(VALU_DEP_4)
	v_dual_fmamk_f32 v114, v189, 0x3f116cb1, v190 :: v_dual_add_f32 v115, v116, v115
	v_add_f32_e32 v167, v117, v188
	v_dual_add_f32 v116, v117, v168 :: v_dual_fmamk_f32 v117, v108, 0x3f52af12, v166
	v_mul_f32_e32 v168, 0xbf6f5d39, v187
	v_fma_f32 v169, 0x3f116cb1, v189, -v190
	v_dual_add_f32 v114, v114, v175 :: v_dual_mul_f32 v175, 0xbeb58ec6, v109
	s_delay_alu instid0(VALU_DEP_4) | instskip(NEXT) | instid1(VALU_DEP_4)
	v_add_f32_e32 v117, v117, v176
	v_fmamk_f32 v176, v189, 0xbeb58ec6, v168
	s_delay_alu instid0(VALU_DEP_4) | instskip(SKIP_2) | instid1(VALU_DEP_3)
	v_dual_add_f32 v164, v169, v164 :: v_dual_mul_f32 v169, 0xbe750f2a, v187
	v_fma_f32 v168, 0xbeb58ec6, v189, -v168
	v_mul_f32_e32 v188, 0xbf3f9e67, v109
	v_dual_add_f32 v176, v176, v177 :: v_dual_fmamk_f32 v177, v189, 0xbf788fa5, v169
	v_fmac_f32_e32 v166, 0xbf52af12, v108
	s_delay_alu instid0(VALU_DEP_4) | instskip(SKIP_1) | instid1(VALU_DEP_3)
	v_add_f32_e32 v168, v168, v170
	v_fma_f32 v169, 0xbf788fa5, v189, -v169
	v_dual_add_f32 v165, v166, v165 :: v_dual_fmamk_f32 v166, v108, 0x3f6f5d39, v175
	s_delay_alu instid0(VALU_DEP_1) | instskip(SKIP_1) | instid1(VALU_DEP_2)
	v_dual_fmac_f32 v175, 0xbf6f5d39, v108 :: v_dual_add_f32 v166, v166, v178
	v_mul_f32_e32 v178, 0xbf788fa5, v109
	v_add_f32_e32 v170, v175, v171
	v_mul_f32_e32 v171, 0x3f29c268, v187
	v_add_f32_e32 v175, v177, v179
	s_delay_alu instid0(VALU_DEP_4) | instskip(NEXT) | instid1(VALU_DEP_3)
	v_fmamk_f32 v177, v108, 0x3e750f2a, v178
	v_fmamk_f32 v179, v189, 0xbf3f9e67, v171
	v_fmac_f32_e32 v178, 0xbe750f2a, v108
	v_fma_f32 v171, 0xbf3f9e67, v189, -v171
	s_delay_alu instid0(VALU_DEP_4) | instskip(NEXT) | instid1(VALU_DEP_4)
	v_add_f32_e32 v177, v177, v180
	v_add_f32_e32 v151, v179, v151
	v_mul_f32_e32 v179, 0x3df6dbef, v109
	s_delay_alu instid0(VALU_DEP_4) | instskip(SKIP_2) | instid1(VALU_DEP_4)
	v_add_f32_e32 v171, v171, v174
	v_dual_add_f32 v169, v169, v172 :: v_dual_add_f32 v172, v178, v173
	v_mul_f32_e32 v109, 0x3f62ad3f, v109
	v_fmamk_f32 v174, v108, 0xbf7e222b, v179
	s_delay_alu instid0(VALU_DEP_1) | instskip(NEXT) | instid1(VALU_DEP_1)
	v_dual_fmamk_f32 v173, v108, 0xbf29c268, v188 :: v_dual_add_f32 v174, v174, v185
	v_dual_mul_f32 v178, 0x3f7e222b, v187 :: v_dual_add_f32 v173, v173, v181
	v_mul_f32_e32 v181, 0x3eedf032, v187
	s_delay_alu instid0(VALU_DEP_2) | instskip(SKIP_2) | instid1(VALU_DEP_3)
	v_dual_add_f32 v185, v112, v110 :: v_dual_fmamk_f32 v180, v189, 0x3df6dbef, v178
	v_fma_f32 v178, 0x3df6dbef, v189, -v178
	v_fmac_f32_e32 v179, 0x3f7e222b, v108
	v_add_f32_e32 v180, v180, v184
	s_delay_alu instid0(VALU_DEP_3) | instskip(NEXT) | instid1(VALU_DEP_3)
	v_add_f32_e32 v178, v178, v182
	v_dual_fmac_f32 v188, 0x3f29c268, v108 :: v_dual_add_f32 v179, v179, v183
	v_fmamk_f32 v184, v189, 0x3f62ad3f, v181
	v_dual_sub_f32 v182, v111, v113 :: v_dual_add_f32 v111, v113, v111
	s_delay_alu instid0(VALU_DEP_3) | instskip(SKIP_1) | instid1(VALU_DEP_4)
	v_add_f32_e32 v152, v188, v152
	v_fma_f32 v113, 0x3f62ad3f, v189, -v181
	v_add_f32_e32 v183, v184, v186
	v_fmamk_f32 v184, v108, 0xbeedf032, v109
	v_mul_f32_e32 v186, 0xbf7e222b, v182
	v_fmac_f32_e32 v109, 0x3eedf032, v108
	v_dual_sub_f32 v108, v110, v112 :: v_dual_add_f32 v113, v113, v115
	s_delay_alu instid0(VALU_DEP_3) | instskip(SKIP_1) | instid1(VALU_DEP_2)
	v_dual_add_f32 v167, v184, v167 :: v_dual_fmamk_f32 v110, v185, 0x3df6dbef, v186
	v_mul_f32_e32 v184, 0x3f62ad3f, v111
	v_add_f32_e32 v110, v110, v114
	v_dual_mul_f32 v112, 0x3df6dbef, v111 :: v_dual_add_f32 v109, v109, v116
	v_fma_f32 v116, 0x3df6dbef, v185, -v186
	v_mul_f32_e32 v181, 0xbf788fa5, v111
	s_delay_alu instid0(VALU_DEP_3) | instskip(SKIP_4) | instid1(VALU_DEP_4)
	v_fmamk_f32 v114, v108, 0x3f7e222b, v112
	v_mul_f32_e32 v115, 0xbe750f2a, v182
	v_fmac_f32_e32 v112, 0xbf7e222b, v108
	v_add_f32_e32 v116, v116, v164
	v_fmamk_f32 v164, v108, 0x3e750f2a, v181
	v_dual_add_f32 v114, v114, v117 :: v_dual_fmamk_f32 v117, v185, 0xbf788fa5, v115
	s_delay_alu instid0(VALU_DEP_4) | instskip(SKIP_1) | instid1(VALU_DEP_4)
	v_dual_add_f32 v112, v112, v165 :: v_dual_mul_f32 v165, 0x3f6f5d39, v182
	v_fma_f32 v115, 0xbf788fa5, v185, -v115
	v_dual_fmac_f32 v181, 0xbe750f2a, v108 :: v_dual_add_f32 v164, v164, v166
	s_delay_alu instid0(VALU_DEP_4) | instskip(NEXT) | instid1(VALU_DEP_4)
	v_add_f32_e32 v117, v117, v176
	v_fmamk_f32 v166, v185, 0xbeb58ec6, v165
	s_delay_alu instid0(VALU_DEP_4) | instskip(NEXT) | instid1(VALU_DEP_4)
	v_dual_mul_f32 v176, 0xbeb58ec6, v111 :: v_dual_add_f32 v115, v115, v168
	v_add_f32_e32 v168, v181, v170
	v_mul_f32_e32 v170, 0x3eedf032, v182
	s_delay_alu instid0(VALU_DEP_3) | instskip(SKIP_1) | instid1(VALU_DEP_3)
	v_dual_add_f32 v166, v166, v175 :: v_dual_fmamk_f32 v175, v108, 0xbf6f5d39, v176
	v_fma_f32 v165, 0xbeb58ec6, v185, -v165
	v_fmamk_f32 v181, v185, 0x3f62ad3f, v170
	s_delay_alu instid0(VALU_DEP_3) | instskip(SKIP_1) | instid1(VALU_DEP_4)
	v_add_f32_e32 v175, v175, v177
	v_mul_f32_e32 v177, 0x3f116cb1, v111
	v_add_f32_e32 v165, v165, v169
	s_delay_alu instid0(VALU_DEP_4) | instskip(SKIP_3) | instid1(VALU_DEP_3)
	v_add_f32_e32 v151, v181, v151
	v_fma_f32 v170, 0x3f62ad3f, v185, -v170
	v_mul_f32_e32 v181, 0xbf29c268, v182
	v_mul_f32_e32 v111, 0xbf3f9e67, v111
	v_dual_add_f32 v170, v170, v171 :: v_dual_fmamk_f32 v171, v108, 0x3f52af12, v177
	v_fmac_f32_e32 v176, 0x3f6f5d39, v108
	v_fmac_f32_e32 v177, 0xbf52af12, v108
	s_delay_alu instid0(VALU_DEP_3) | instskip(NEXT) | instid1(VALU_DEP_3)
	v_add_f32_e32 v171, v171, v174
	v_add_f32_e32 v169, v176, v172
	s_delay_alu instid0(VALU_DEP_3) | instskip(SKIP_3) | instid1(VALU_DEP_4)
	v_dual_fmamk_f32 v172, v108, 0xbeedf032, v184 :: v_dual_add_f32 v177, v177, v179
	v_mul_f32_e32 v176, 0xbf52af12, v182
	v_fmac_f32_e32 v184, 0x3eedf032, v108
	v_fmamk_f32 v179, v108, 0x3f29c268, v111
	v_dual_add_f32 v172, v172, v173 :: v_dual_fmac_f32 v111, 0xbf29c268, v108
	s_delay_alu instid0(VALU_DEP_4) | instskip(SKIP_1) | instid1(VALU_DEP_4)
	v_fmamk_f32 v173, v185, 0x3f116cb1, v176
	v_fma_f32 v176, 0x3f116cb1, v185, -v176
	v_add_f32_e32 v167, v179, v167
	s_delay_alu instid0(VALU_DEP_2)
	v_dual_add_f32 v109, v111, v109 :: v_dual_add_f32 v176, v176, v178
	v_sub_f32_e32 v178, v101, v107
	v_dual_fmamk_f32 v174, v185, 0xbf3f9e67, v181 :: v_dual_add_f32 v101, v107, v101
	v_add_f32_e32 v152, v184, v152
	v_add_f32_e32 v173, v173, v180
	v_add_f32_e32 v180, v106, v100
	s_delay_alu instid0(VALU_DEP_4)
	v_add_f32_e32 v174, v174, v183
	v_fma_f32 v107, 0xbf3f9e67, v185, -v181
	v_mul_f32_e32 v182, 0xbf6f5d39, v178
	v_sub_f32_e32 v100, v100, v106
	v_mul_f32_e32 v108, 0xbeb58ec6, v101
	v_mul_f32_e32 v111, 0x3f29c268, v178
	v_add_f32_e32 v107, v107, v113
	v_fma_f32 v113, 0xbeb58ec6, v180, -v182
	v_fmamk_f32 v106, v180, 0xbeb58ec6, v182
	v_mul_f32_e32 v179, 0xbf3f9e67, v101
	v_mul_f32_e32 v181, 0x3df6dbef, v101
	s_delay_alu instid0(VALU_DEP_3) | instskip(SKIP_2) | instid1(VALU_DEP_2)
	v_dual_add_f32 v113, v113, v116 :: v_dual_add_f32 v106, v106, v110
	v_fmamk_f32 v110, v100, 0x3f6f5d39, v108
	v_mul_f32_e32 v116, 0x3eedf032, v178
	v_add_f32_e32 v110, v110, v114
	v_fmamk_f32 v114, v180, 0xbf3f9e67, v111
	v_fma_f32 v111, 0xbf3f9e67, v180, -v111
	s_delay_alu instid0(VALU_DEP_2) | instskip(NEXT) | instid1(VALU_DEP_2)
	v_dual_add_f32 v114, v114, v117 :: v_dual_fmamk_f32 v117, v180, 0x3f62ad3f, v116
	v_dual_add_f32 v111, v111, v115 :: v_dual_fmac_f32 v108, 0xbf6f5d39, v100
	v_fma_f32 v116, 0x3f62ad3f, v180, -v116
	s_delay_alu instid0(VALU_DEP_2) | instskip(NEXT) | instid1(VALU_DEP_2)
	v_dual_add_f32 v117, v117, v166 :: v_dual_add_f32 v108, v108, v112
	v_add_f32_e32 v116, v116, v165
	v_fmamk_f32 v165, v100, 0x3f7e222b, v181
	v_fmamk_f32 v112, v100, 0xbf29c268, v179
	v_fmac_f32_e32 v179, 0x3f29c268, v100
	v_fmac_f32_e32 v181, 0xbf7e222b, v100
	s_delay_alu instid0(VALU_DEP_2) | instskip(NEXT) | instid1(VALU_DEP_2)
	v_dual_add_f32 v115, v179, v168 :: v_dual_mul_f32 v168, 0xbf7e222b, v178
	v_add_f32_e32 v152, v181, v152
	v_add_f32_e32 v165, v165, v172
	;; [unrolled: 1-line block ×3, first 2 shown]
	v_mul_f32_e32 v164, 0x3f62ad3f, v101
	s_delay_alu instid0(VALU_DEP_1) | instskip(SKIP_1) | instid1(VALU_DEP_1)
	v_fmamk_f32 v166, v100, 0xbeedf032, v164
	v_fmac_f32_e32 v164, 0x3eedf032, v100
	v_dual_add_f32 v164, v164, v169 :: v_dual_mul_f32 v169, 0x3e750f2a, v178
	s_delay_alu instid0(VALU_DEP_1) | instskip(SKIP_1) | instid1(VALU_DEP_1)
	v_fmamk_f32 v172, v180, 0xbf788fa5, v169
	v_fma_f32 v169, 0xbf788fa5, v180, -v169
	v_dual_add_f32 v172, v172, v173 :: v_dual_add_f32 v169, v169, v176
	v_sub_f32_e32 v173, v103, v105
	v_dual_fmamk_f32 v179, v180, 0x3df6dbef, v168 :: v_dual_add_f32 v166, v166, v175
	v_fma_f32 v168, 0x3df6dbef, v180, -v168
	v_mul_f32_e32 v175, 0xbf788fa5, v101
	v_dual_mul_f32 v101, 0x3f116cb1, v101 :: v_dual_add_f32 v176, v104, v102
	v_mul_f32_e32 v178, 0x3f52af12, v178
	s_delay_alu instid0(VALU_DEP_4) | instskip(SKIP_1) | instid1(VALU_DEP_3)
	v_dual_add_f32 v168, v168, v170 :: v_dual_add_f32 v103, v105, v103
	v_add_f32_e32 v151, v179, v151
	v_fma_f32 v105, 0x3f116cb1, v180, -v178
	s_delay_alu instid0(VALU_DEP_1) | instskip(NEXT) | instid1(VALU_DEP_1)
	v_dual_fmamk_f32 v170, v100, 0xbe750f2a, v175 :: v_dual_add_f32 v105, v105, v107
	v_dual_add_f32 v170, v170, v171 :: v_dual_fmac_f32 v175, 0x3e750f2a, v100
	v_fmamk_f32 v171, v180, 0x3f116cb1, v178
	s_delay_alu instid0(VALU_DEP_2) | instskip(SKIP_1) | instid1(VALU_DEP_3)
	v_add_f32_e32 v175, v175, v177
	v_mul_f32_e32 v177, 0xbf29c268, v173
	v_dual_add_f32 v171, v171, v174 :: v_dual_fmamk_f32 v174, v100, 0xbf52af12, v101
	v_fmac_f32_e32 v101, 0x3f52af12, v100
	v_sub_f32_e32 v100, v102, v104
	s_delay_alu instid0(VALU_DEP_4) | instskip(NEXT) | instid1(VALU_DEP_3)
	v_fmamk_f32 v102, v176, 0xbf3f9e67, v177
	v_dual_mul_f32 v104, 0xbf3f9e67, v103 :: v_dual_add_f32 v101, v101, v109
	v_add_f32_e32 v167, v174, v167
	s_delay_alu instid0(VALU_DEP_3) | instskip(NEXT) | instid1(VALU_DEP_3)
	v_add_f32_e32 v102, v102, v106
	v_fmamk_f32 v106, v100, 0x3f29c268, v104
	v_mul_f32_e32 v107, 0x3f7e222b, v173
	v_fma_f32 v109, 0xbf3f9e67, v176, -v177
	v_fmac_f32_e32 v104, 0xbf29c268, v100
	v_mul_f32_e32 v174, 0x3df6dbef, v103
	v_add_f32_e32 v106, v106, v110
	v_fmamk_f32 v110, v176, 0x3df6dbef, v107
	v_fma_f32 v107, 0x3df6dbef, v176, -v107
	v_dual_add_f32 v109, v109, v113 :: v_dual_add_f32 v104, v104, v108
	v_mul_f32_e32 v113, 0xbf52af12, v173
	v_mul_f32_e32 v177, 0xbf788fa5, v103
	s_delay_alu instid0(VALU_DEP_4) | instskip(NEXT) | instid1(VALU_DEP_1)
	v_dual_add_f32 v107, v107, v111 :: v_dual_fmamk_f32 v108, v100, 0xbf7e222b, v174
	v_add_f32_e32 v108, v108, v112
	s_delay_alu instid0(VALU_DEP_4) | instskip(SKIP_1) | instid1(VALU_DEP_1)
	v_fmamk_f32 v112, v176, 0x3f116cb1, v113
	v_fma_f32 v113, 0x3f116cb1, v176, -v113
	v_dual_add_f32 v112, v112, v117 :: v_dual_add_f32 v113, v113, v116
	v_fmac_f32_e32 v174, 0x3f7e222b, v100
	s_delay_alu instid0(VALU_DEP_1) | instskip(SKIP_1) | instid1(VALU_DEP_1)
	v_add_f32_e32 v111, v174, v115
	v_mul_f32_e32 v115, 0x3e750f2a, v173
	v_fmamk_f32 v174, v176, 0xbf788fa5, v115
	v_fma_f32 v115, 0xbf788fa5, v176, -v115
	s_delay_alu instid0(VALU_DEP_1) | instskip(SKIP_4) | instid1(VALU_DEP_3)
	v_dual_add_f32 v116, v174, v151 :: v_dual_add_f32 v115, v115, v168
	v_add_f32_e32 v110, v110, v114
	v_mul_f32_e32 v114, 0x3f116cb1, v103
	v_fmamk_f32 v151, v100, 0xbe750f2a, v177
	v_fmac_f32_e32 v177, 0x3e750f2a, v100
	v_fmamk_f32 v117, v100, 0x3f52af12, v114
	s_delay_alu instid0(VALU_DEP_3) | instskip(NEXT) | instid1(VALU_DEP_3)
	v_dual_fmac_f32 v114, 0xbf52af12, v100 :: v_dual_add_f32 v151, v151, v165
	v_add_f32_e32 v152, v177, v152
	s_delay_alu instid0(VALU_DEP_2) | instskip(SKIP_4) | instid1(VALU_DEP_4)
	v_dual_add_f32 v117, v117, v166 :: v_dual_add_f32 v114, v114, v164
	v_mul_f32_e32 v164, 0x3eedf032, v173
	v_mul_f32_e32 v166, 0x3f62ad3f, v103
	;; [unrolled: 1-line block ×4, first 2 shown]
	v_fmamk_f32 v165, v176, 0x3f62ad3f, v164
	s_delay_alu instid0(VALU_DEP_4) | instskip(SKIP_1) | instid1(VALU_DEP_2)
	v_fmamk_f32 v168, v100, 0xbeedf032, v166
	v_fma_f32 v164, 0x3f62ad3f, v176, -v164
	v_dual_add_f32 v165, v165, v172 :: v_dual_add_f32 v168, v168, v170
	s_delay_alu instid0(VALU_DEP_2) | instskip(SKIP_2) | instid1(VALU_DEP_3)
	v_dual_add_f32 v164, v164, v169 :: v_dual_sub_f32 v169, v97, v99
	v_fmac_f32_e32 v166, 0x3eedf032, v100
	v_fmamk_f32 v170, v176, 0xbeb58ec6, v173
	v_mul_f32_e32 v174, 0xbe750f2a, v169
	s_delay_alu instid0(VALU_DEP_3) | instskip(SKIP_2) | instid1(VALU_DEP_3)
	v_dual_add_f32 v166, v166, v175 :: v_dual_add_f32 v175, v99, v97
	v_fma_f32 v97, 0xbeb58ec6, v176, -v173
	v_sub_f32_e32 v173, v96, v98
	v_mul_f32_e32 v99, 0xbf788fa5, v175
	v_dual_add_f32 v170, v170, v171 :: v_dual_fmamk_f32 v171, v100, 0x3f6f5d39, v103
	v_add_f32_e32 v172, v98, v96
	v_fmac_f32_e32 v103, 0xbf6f5d39, v100
	s_delay_alu instid0(VALU_DEP_3) | instskip(SKIP_1) | instid1(VALU_DEP_3)
	v_add_f32_e32 v167, v171, v167
	v_add_f32_e32 v171, v97, v105
	v_dual_add_f32 v176, v103, v101 :: v_dual_mul_f32 v103, 0x3f62ad3f, v175
	v_fmamk_f32 v97, v173, 0x3e750f2a, v99
	v_fmac_f32_e32 v99, 0xbe750f2a, v173
	v_fmamk_f32 v96, v172, 0xbf788fa5, v174
	v_mul_f32_e32 v101, 0x3eedf032, v169
	v_mul_f32_e32 v105, 0xbf29c268, v169
	v_add_f32_e32 v97, v97, v106
	s_delay_alu instid0(VALU_DEP_4)
	v_dual_add_f32 v99, v99, v104 :: v_dual_add_f32 v96, v96, v102
	v_fmamk_f32 v102, v173, 0xbeedf032, v103
	v_fmamk_f32 v100, v172, 0x3f62ad3f, v101
	v_fma_f32 v104, 0x3f62ad3f, v172, -v101
	v_fmamk_f32 v106, v172, 0xbf3f9e67, v105
	v_fmac_f32_e32 v103, 0x3eedf032, v173
	v_dual_add_f32 v101, v102, v108 :: v_dual_mul_f32 v108, 0xbf3f9e67, v175
	v_fma_f32 v98, 0xbf788fa5, v172, -v174
	v_add_f32_e32 v102, v104, v107
	v_add_f32_e32 v104, v106, v112
	v_fma_f32 v107, 0xbf3f9e67, v172, -v105
	v_fmamk_f32 v106, v173, 0x3f29c268, v108
	v_add_f32_e32 v98, v98, v109
	v_mul_f32_e32 v109, 0x3f52af12, v169
	v_add_f32_e32 v103, v103, v111
	v_mul_f32_e32 v111, 0x3f116cb1, v175
	v_dual_add_f32 v105, v106, v117 :: v_dual_add_f32 v100, v100, v110
	v_fmac_f32_e32 v108, 0xbf29c268, v173
	v_fmamk_f32 v110, v172, 0x3f116cb1, v109
	v_add_f32_e32 v106, v107, v113
	v_mul_f32_e32 v112, 0xbf6f5d39, v169
	v_fma_f32 v113, 0x3f116cb1, v172, -v109
	s_delay_alu instid0(VALU_DEP_4) | instskip(SKIP_4) | instid1(VALU_DEP_3)
	v_dual_add_f32 v107, v108, v114 :: v_dual_add_f32 v108, v110, v116
	v_mul_f32_e32 v117, 0x3f7e222b, v169
	v_fmamk_f32 v110, v173, 0xbf52af12, v111
	v_fmac_f32_e32 v111, 0x3f52af12, v173
	v_mul_f32_e32 v116, 0xbeb58ec6, v175
	v_dual_fmamk_f32 v114, v172, 0xbeb58ec6, v112 :: v_dual_add_f32 v109, v110, v151
	v_dual_add_f32 v110, v113, v115 :: v_dual_fmamk_f32 v151, v172, 0x3df6dbef, v117
	s_delay_alu instid0(VALU_DEP_4) | instskip(SKIP_4) | instid1(VALU_DEP_4)
	v_add_f32_e32 v111, v111, v152
	v_fma_f32 v115, 0xbeb58ec6, v172, -v112
	v_mul_f32_e32 v152, 0x3df6dbef, v175
	v_dual_fmamk_f32 v113, v173, 0x3f6f5d39, v116 :: v_dual_add_f32 v112, v114, v165
	v_fmac_f32_e32 v116, 0xbf6f5d39, v173
	v_add_f32_e32 v114, v115, v164
	s_delay_alu instid0(VALU_DEP_4) | instskip(SKIP_3) | instid1(VALU_DEP_4)
	v_fmamk_f32 v164, v173, 0xbf7e222b, v152
	v_fma_f32 v165, 0x3df6dbef, v172, -v117
	v_dual_fmac_f32 v152, 0x3f7e222b, v173 :: v_dual_add_f32 v113, v113, v168
	v_add_f32_e32 v115, v116, v166
	v_dual_add_f32 v116, v151, v170 :: v_dual_add_f32 v117, v164, v167
	s_delay_alu instid0(VALU_DEP_3)
	v_dual_add_f32 v151, v165, v171 :: v_dual_add_f32 v152, v152, v176
	ds_store_2addr_b64 v159, v[118:119], v[96:97] offset1:1
	ds_store_2addr_b64 v159, v[100:101], v[104:105] offset0:2 offset1:3
	ds_store_2addr_b64 v159, v[108:109], v[112:113] offset0:4 offset1:5
	;; [unrolled: 1-line block ×5, first 2 shown]
	ds_store_b64 v159, v[98:99] offset:96
	s_and_saveexec_b32 s0, vcc_lo
	s_cbranch_execz .LBB0_13
; %bb.12:
	v_dual_add_f32 v116, v150, v83 :: v_dual_add_f32 v117, v75, v89
	v_dual_sub_f32 v106, v82, v149 :: v_dual_sub_f32 v103, v88, v74
	s_delay_alu instid0(VALU_DEP_2) | instskip(NEXT) | instid1(VALU_DEP_3)
	v_dual_add_f32 v118, v73, v91 :: v_dual_mul_f32 v119, 0xbf788fa5, v116
	v_dual_mul_f32 v152, 0x3f62ad3f, v117 :: v_dual_sub_f32 v105, v78, v92
	v_dual_sub_f32 v104, v90, v72 :: v_dual_add_f32 v151, v95, v77
	s_delay_alu instid0(VALU_DEP_3) | instskip(NEXT) | instid1(VALU_DEP_4)
	v_dual_fmamk_f32 v96, v106, 0x3e750f2a, v119 :: v_dual_sub_f32 v165, v83, v150
	v_dual_mul_f32 v164, 0xbf3f9e67, v118 :: v_dual_sub_f32 v173, v77, v95
	s_delay_alu instid0(VALU_DEP_2) | instskip(SKIP_2) | instid1(VALU_DEP_4)
	v_dual_fmamk_f32 v97, v103, 0xbeedf032, v152 :: v_dual_add_f32 v96, v81, v96
	v_dual_sub_f32 v102, v76, v94 :: v_dual_add_f32 v159, v93, v79
	v_dual_add_f32 v107, v149, v82 :: v_dual_mul_f32 v166, 0x3f116cb1, v151
	v_dual_fmamk_f32 v98, v104, 0x3f29c268, v164 :: v_dual_add_f32 v111, v94, v76
	s_delay_alu instid0(VALU_DEP_4) | instskip(NEXT) | instid1(VALU_DEP_3)
	v_dual_add_f32 v96, v97, v96 :: v_dual_mul_f32 v167, 0xbe750f2a, v165
	v_dual_sub_f32 v168, v89, v75 :: v_dual_fmamk_f32 v97, v102, 0xbf52af12, v166
	v_dual_add_f32 v108, v74, v88 :: v_dual_mul_f32 v171, 0xbeb58ec6, v159
	s_delay_alu instid0(VALU_DEP_3) | instskip(NEXT) | instid1(VALU_DEP_4)
	v_add_f32_e32 v96, v98, v96
	v_dual_fmamk_f32 v98, v107, 0xbf788fa5, v167 :: v_dual_add_f32 v109, v72, v90
	s_delay_alu instid0(VALU_DEP_4) | instskip(NEXT) | instid1(VALU_DEP_2)
	v_dual_mul_f32 v169, 0x3eedf032, v168 :: v_dual_sub_f32 v170, v91, v73
	v_dual_add_f32 v96, v97, v96 :: v_dual_add_f32 v97, v80, v98
	s_delay_alu instid0(VALU_DEP_2) | instskip(SKIP_2) | instid1(VALU_DEP_3)
	v_dual_sub_f32 v177, v79, v93 :: v_dual_fmamk_f32 v98, v108, 0x3f62ad3f, v169
	v_dual_fmamk_f32 v99, v105, 0x3f6f5d39, v171 :: v_dual_add_f32 v174, v87, v85
	v_dual_mul_f32 v175, 0x3f52af12, v173 :: v_dual_sub_f32 v110, v84, v86
	v_dual_add_f32 v97, v98, v97 :: v_dual_mul_f32 v172, 0xbf29c268, v170
	v_mul_f32_e32 v179, 0xbf3f9e67, v116
	v_dual_mul_f32 v178, 0xbf6f5d39, v177 :: v_dual_add_f32 v113, v86, v84
	v_add_f32_e32 v96, v99, v96
	s_delay_alu instid0(VALU_DEP_4) | instskip(NEXT) | instid1(VALU_DEP_4)
	v_fmamk_f32 v98, v109, 0xbf3f9e67, v172
	v_fmamk_f32 v101, v106, 0x3f29c268, v179
	v_mul_f32_e32 v176, 0x3df6dbef, v174
	v_add_f32_e32 v112, v92, v78
	v_mul_f32_e32 v180, 0x3df6dbef, v117
	v_dual_add_f32 v97, v98, v97 :: v_dual_fmamk_f32 v98, v111, 0x3f116cb1, v175
	v_sub_f32_e32 v181, v85, v87
	v_fmamk_f32 v99, v110, 0xbf7e222b, v176
	v_dual_fmamk_f32 v100, v112, 0xbeb58ec6, v178 :: v_dual_mul_f32 v191, 0xbeb58ec6, v116
	s_delay_alu instid0(VALU_DEP_4) | instskip(NEXT) | instid1(VALU_DEP_4)
	v_add_f32_e32 v98, v98, v97
	v_mul_f32_e32 v183, 0x3f7e222b, v181
	s_delay_alu instid0(VALU_DEP_4)
	v_add_f32_e32 v97, v99, v96
	v_fmamk_f32 v99, v103, 0xbf7e222b, v180
	v_mul_f32_e32 v184, 0xbf29c268, v165
	v_add_f32_e32 v96, v100, v98
	v_mul_f32_e32 v182, 0x3f116cb1, v118
	v_add_f32_e32 v98, v81, v101
	v_dual_fmamk_f32 v100, v113, 0x3df6dbef, v183 :: v_dual_mul_f32 v197, 0x3df6dbef, v151
	v_fmamk_f32 v101, v107, 0xbf3f9e67, v184
	s_delay_alu instid0(VALU_DEP_3) | instskip(SKIP_1) | instid1(VALU_DEP_4)
	v_dual_mul_f32 v185, 0xbf788fa5, v151 :: v_dual_add_f32 v98, v99, v98
	v_mul_f32_e32 v186, 0x3f7e222b, v168
	v_add_f32_e32 v96, v100, v96
	s_delay_alu instid0(VALU_DEP_4) | instskip(SKIP_4) | instid1(VALU_DEP_4)
	v_add_f32_e32 v101, v80, v101
	v_fmamk_f32 v99, v104, 0x3f52af12, v182
	v_mul_f32_e32 v188, 0xbf52af12, v170
	v_fmamk_f32 v114, v108, 0x3df6dbef, v186
	v_dual_mul_f32 v192, 0x3eedf032, v177 :: v_dual_mul_f32 v201, 0x3eedf032, v170
	v_dual_add_f32 v98, v99, v98 :: v_dual_fmamk_f32 v99, v102, 0xbe750f2a, v185
	s_delay_alu instid0(VALU_DEP_3) | instskip(NEXT) | instid1(VALU_DEP_3)
	v_dual_mul_f32 v187, 0x3f62ad3f, v159 :: v_dual_add_f32 v100, v114, v101
	v_dual_fmamk_f32 v115, v112, 0x3f62ad3f, v192 :: v_dual_mul_f32 v194, 0x3f62ad3f, v118
	s_delay_alu instid0(VALU_DEP_2) | instskip(SKIP_4) | instid1(VALU_DEP_4)
	v_dual_add_f32 v98, v99, v98 :: v_dual_fmamk_f32 v99, v105, 0xbeedf032, v187
	v_fmamk_f32 v101, v109, 0x3f116cb1, v188
	v_mul_f32_e32 v199, 0xbf788fa5, v159
	v_mul_f32_e32 v207, 0xbeb58ec6, v118
	;; [unrolled: 1-line block ×3, first 2 shown]
	v_dual_add_f32 v98, v99, v98 :: v_dual_add_f32 v99, v101, v100
	v_mul_f32_e32 v189, 0x3e750f2a, v173
	v_mul_f32_e32 v190, 0xbeb58ec6, v174
	v_fmamk_f32 v114, v106, 0x3f6f5d39, v191
	v_mul_f32_e32 v209, 0xbf7e222b, v165
	v_dual_mul_f32 v216, 0xbf3f9e67, v174 :: v_dual_mul_f32 v223, 0xbf3f9e67, v151
	v_fmamk_f32 v100, v111, 0xbf788fa5, v189
	v_mul_f32_e32 v206, 0xbf788fa5, v117
	s_delay_alu instid0(VALU_DEP_4) | instskip(SKIP_3) | instid1(VALU_DEP_4)
	v_fmamk_f32 v211, v107, 0x3df6dbef, v209
	v_fmamk_f32 v202, v105, 0xbe750f2a, v199
	v_fmamk_f32 v218, v110, 0x3f29c268, v216
	v_dual_add_f32 v100, v100, v99 :: v_dual_mul_f32 v193, 0xbf3f9e67, v117
	v_dual_add_f32 v211, v80, v211 :: v_dual_mul_f32 v204, 0x3e750f2a, v177
	v_mul_f32_e32 v222, 0xbf52af12, v165
	s_delay_alu instid0(VALU_DEP_3)
	v_add_f32_e32 v100, v115, v100
	v_fmamk_f32 v115, v107, 0xbeb58ec6, v196
	v_fmamk_f32 v101, v110, 0x3f6f5d39, v190
	v_add_f32_e32 v83, v83, v81
	v_fmamk_f32 v225, v107, 0x3f116cb1, v222
	v_mul_f32_e32 v212, 0xbe750f2a, v168
	v_mul_f32_e32 v203, 0x3df6dbef, v116
	v_add_f32_e32 v99, v101, v98
	s_delay_alu instid0(VALU_DEP_4) | instskip(SKIP_1) | instid1(VALU_DEP_4)
	v_dual_add_f32 v98, v81, v114 :: v_dual_add_f32 v225, v80, v225
	v_mul_f32_e32 v195, 0xbf6f5d39, v181
	v_fmamk_f32 v205, v106, 0x3f7e222b, v203
	v_dual_mul_f32 v198, 0x3f29c268, v168 :: v_dual_add_f32 v115, v80, v115
	v_fmamk_f32 v214, v108, 0xbf788fa5, v212
	s_delay_alu instid0(VALU_DEP_4) | instskip(SKIP_1) | instid1(VALU_DEP_4)
	v_fmamk_f32 v114, v113, 0xbeb58ec6, v195
	v_fmamk_f32 v101, v103, 0xbf29c268, v193
	;; [unrolled: 1-line block ×3, first 2 shown]
	v_mul_f32_e32 v213, 0x3f116cb1, v159
	v_mul_f32_e32 v208, 0x3f52af12, v181
	;; [unrolled: 1-line block ×3, first 2 shown]
	v_dual_add_f32 v98, v101, v98 :: v_dual_fmamk_f32 v101, v104, 0xbeedf032, v194
	v_add_f32_e32 v82, v82, v80
	v_fmac_f32_e32 v182, 0xbf52af12, v104
	v_fmac_f32_e32 v194, 0x3eedf032, v104
	s_delay_alu instid0(VALU_DEP_4)
	v_dual_mul_f32 v227, 0x3df6dbef, v159 :: v_dual_add_f32 v98, v101, v98
	v_fmamk_f32 v101, v102, 0x3f7e222b, v197
	v_fmac_f32_e32 v216, 0xbf29c268, v110
	v_fmac_f32_e32 v166, 0x3f52af12, v102
	v_mul_f32_e32 v215, 0x3f6f5d39, v170
	v_fmamk_f32 v230, v105, 0xbf7e222b, v227
	v_add_f32_e32 v101, v101, v98
	v_mul_f32_e32 v217, 0x3f116cb1, v116
	v_dual_add_f32 v83, v89, v83 :: v_dual_mul_f32 v226, 0xbf6f5d39, v168
	v_mul_f32_e32 v233, 0x3f116cb1, v117
	s_delay_alu instid0(VALU_DEP_4) | instskip(NEXT) | instid1(VALU_DEP_3)
	v_add_f32_e32 v101, v202, v101
	v_dual_add_f32 v98, v114, v100 :: v_dual_add_f32 v83, v91, v83
	v_fmamk_f32 v114, v109, 0x3f62ad3f, v201
	v_mul_f32_e32 v202, 0x3f116cb1, v174
	v_add_f32_e32 v100, v200, v115
	v_mul_f32_e32 v200, 0xbf7e222b, v173
	v_fmamk_f32 v219, v106, 0x3f52af12, v217
	v_add_f32_e32 v77, v77, v83
	v_fmamk_f32 v115, v110, 0xbf52af12, v202
	v_add_f32_e32 v100, v114, v100
	v_fmamk_f32 v114, v111, 0x3df6dbef, v200
	s_delay_alu instid0(VALU_DEP_4) | instskip(NEXT) | instid1(VALU_DEP_4)
	v_dual_fmac_f32 v202, 0x3f52af12, v110 :: v_dual_add_f32 v77, v79, v77
	v_add_f32_e32 v101, v115, v101
	s_delay_alu instid0(VALU_DEP_3) | instskip(SKIP_1) | instid1(VALU_DEP_4)
	v_dual_add_f32 v115, v81, v205 :: v_dual_add_f32 v100, v114, v100
	v_fmamk_f32 v205, v103, 0x3e750f2a, v206
	v_dual_fmamk_f32 v114, v112, 0xbf788fa5, v204 :: v_dual_add_f32 v77, v85, v77
	v_fmamk_f32 v228, v108, 0xbeb58ec6, v226
	v_mul_f32_e32 v91, 0xbf3f9e67, v159
	v_fma_f32 v85, 0xbf3f9e67, v108, -v198
	s_delay_alu instid0(VALU_DEP_4)
	v_dual_add_f32 v100, v114, v100 :: v_dual_add_f32 v77, v87, v77
	v_dual_add_f32 v114, v205, v115 :: v_dual_fmamk_f32 v115, v104, 0xbf6f5d39, v207
	v_mul_f32_e32 v205, 0x3f62ad3f, v151
	v_mul_f32_e32 v151, 0xbeb58ec6, v151
	;; [unrolled: 1-line block ×4, first 2 shown]
	s_delay_alu instid0(VALU_DEP_4) | instskip(SKIP_2) | instid1(VALU_DEP_3)
	v_dual_add_f32 v114, v115, v114 :: v_dual_fmamk_f32 v115, v102, 0xbeedf032, v205
	v_dual_add_f32 v82, v88, v82 :: v_dual_add_f32 v77, v93, v77
	v_mul_f32_e32 v165, 0xbeedf032, v165
	v_dual_fmac_f32 v171, 0xbf6f5d39, v105 :: v_dual_add_f32 v114, v115, v114
	v_fmamk_f32 v115, v105, 0x3f52af12, v213
	v_fmamk_f32 v210, v113, 0x3f116cb1, v208
	v_add_f32_e32 v82, v90, v82
	v_dual_mul_f32 v90, 0xbf52af12, v168 :: v_dual_add_f32 v77, v95, v77
	s_delay_alu instid0(VALU_DEP_3)
	v_dual_fmac_f32 v213, 0xbf52af12, v105 :: v_dual_add_f32 v100, v210, v100
	v_dual_add_f32 v210, v214, v211 :: v_dual_fmamk_f32 v211, v109, 0xbeb58ec6, v215
	v_mul_f32_e32 v214, 0x3eedf032, v173
	v_add_f32_e32 v114, v115, v114
	v_fmac_f32_e32 v180, 0x3f7e222b, v103
	v_fma_f32 v93, 0x3f116cb1, v113, -v208
	v_add_f32_e32 v115, v211, v210
	v_fmamk_f32 v210, v111, 0x3f62ad3f, v214
	v_dual_mul_f32 v211, 0xbf52af12, v177 :: v_dual_add_f32 v76, v76, v82
	v_fmamk_f32 v82, v105, 0x3f29c268, v91
	s_delay_alu instid0(VALU_DEP_3) | instskip(NEXT) | instid1(VALU_DEP_3)
	v_dual_fmamk_f32 v79, v108, 0x3f116cb1, v90 :: v_dual_add_f32 v210, v210, v115
	v_fmamk_f32 v221, v112, 0x3f116cb1, v211
	v_dual_add_f32 v115, v218, v114 :: v_dual_add_f32 v114, v81, v219
	v_fmamk_f32 v218, v103, 0x3f6f5d39, v220
	v_mul_f32_e32 v219, 0xbf788fa5, v118
	s_delay_alu instid0(VALU_DEP_4) | instskip(SKIP_1) | instid1(VALU_DEP_4)
	v_dual_add_f32 v210, v221, v210 :: v_dual_mul_f32 v221, 0xbf29c268, v181
	v_mul_f32_e32 v118, 0x3df6dbef, v118
	v_add_f32_e32 v114, v218, v114
	s_delay_alu instid0(VALU_DEP_4) | instskip(SKIP_2) | instid1(VALU_DEP_3)
	v_fmamk_f32 v218, v104, 0x3e750f2a, v219
	v_dual_add_f32 v76, v78, v76 :: v_dual_fmac_f32 v179, 0xbf29c268, v106
	v_fmamk_f32 v224, v113, 0xbf3f9e67, v221
	v_dual_mul_f32 v159, 0xbf6f5d39, v173 :: v_dual_add_f32 v114, v218, v114
	v_fmamk_f32 v218, v102, 0xbf29c268, v223
	s_delay_alu instid0(VALU_DEP_4) | instskip(SKIP_2) | instid1(VALU_DEP_4)
	v_dual_add_f32 v76, v84, v76 :: v_dual_fmac_f32 v191, 0xbf6f5d39, v106
	v_fmac_f32_e32 v206, 0xbe750f2a, v103
	v_fmac_f32_e32 v152, 0x3eedf032, v103
	v_add_f32_e32 v218, v218, v114
	v_add_f32_e32 v114, v224, v210
	;; [unrolled: 1-line block ×3, first 2 shown]
	v_fmamk_f32 v224, v109, 0xbf788fa5, v229
	v_mul_f32_e32 v228, 0x3f62ad3f, v174
	v_add_f32_e32 v218, v230, v218
	v_mul_f32_e32 v230, 0x3f62ad3f, v116
	v_add_f32_e32 v76, v86, v76
	s_delay_alu instid0(VALU_DEP_4) | instskip(SKIP_1) | instid1(VALU_DEP_4)
	v_dual_add_f32 v116, v224, v210 :: v_dual_fmamk_f32 v231, v110, 0xbeedf032, v228
	v_fmac_f32_e32 v185, 0x3e750f2a, v102
	v_fmamk_f32 v232, v106, 0x3eedf032, v230
	v_mul_f32_e32 v225, 0x3f29c268, v173
	v_fmac_f32_e32 v187, 0x3eedf032, v105
	v_add_f32_e32 v117, v231, v218
	s_delay_alu instid0(VALU_DEP_4) | instskip(SKIP_3) | instid1(VALU_DEP_4)
	v_dual_fmamk_f32 v231, v103, 0x3f52af12, v233 :: v_dual_add_f32 v218, v81, v232
	v_add_f32_e32 v84, v81, v191
	v_fmac_f32_e32 v193, 0x3f29c268, v103
	v_fmac_f32_e32 v197, 0xbf7e222b, v102
	v_dual_fmac_f32 v233, 0xbf52af12, v103 :: v_dual_add_f32 v218, v231, v218
	v_fmamk_f32 v231, v104, 0x3f7e222b, v118
	v_fmac_f32_e32 v176, 0x3f7e222b, v110
	v_mul_f32_e32 v86, 0xbf29c268, v177
	v_dual_fmamk_f32 v210, v111, 0xbf3f9e67, v225 :: v_dual_add_f32 v77, v73, v77
	s_delay_alu instid0(VALU_DEP_4)
	v_dual_add_f32 v89, v231, v218 :: v_dual_fmamk_f32 v218, v102, 0x3f6f5d39, v151
	v_fmac_f32_e32 v151, 0xbf6f5d39, v102
	v_fmac_f32_e32 v190, 0xbf6f5d39, v110
	v_add_f32_e32 v76, v92, v76
	v_add_f32_e32 v84, v193, v84
	v_dual_add_f32 v88, v218, v89 :: v_dual_fmamk_f32 v89, v107, 0x3f62ad3f, v165
	s_delay_alu instid0(VALU_DEP_3) | instskip(NEXT) | instid1(VALU_DEP_3)
	v_dual_add_f32 v75, v75, v77 :: v_dual_add_f32 v76, v94, v76
	v_add_f32_e32 v84, v194, v84
	s_delay_alu instid0(VALU_DEP_3) | instskip(SKIP_3) | instid1(VALU_DEP_4)
	v_dual_add_f32 v82, v82, v88 :: v_dual_add_f32 v83, v80, v89
	v_mul_f32_e32 v89, 0xbf7e222b, v170
	v_mul_f32_e32 v88, 0xbe750f2a, v181
	v_fma_f32 v77, 0xbf788fa5, v107, -v167
	v_dual_fmac_f32 v199, 0x3e750f2a, v105 :: v_dual_add_f32 v78, v79, v83
	s_delay_alu instid0(VALU_DEP_4) | instskip(SKIP_3) | instid1(VALU_DEP_4)
	v_fmamk_f32 v79, v109, 0x3df6dbef, v89
	v_fmamk_f32 v83, v110, 0x3e750f2a, v87
	v_mul_f32_e32 v224, 0x3f7e222b, v177
	v_dual_fmac_f32 v87, 0xbe750f2a, v110 :: v_dual_add_f32 v84, v197, v84
	v_add_f32_e32 v78, v79, v78
	v_fmamk_f32 v79, v111, 0xbeb58ec6, v159
	v_dual_add_f32 v73, v83, v82 :: v_dual_add_f32 v76, v72, v76
	v_fmac_f32_e32 v203, 0xbf7e222b, v106
	s_delay_alu instid0(VALU_DEP_3) | instskip(SKIP_3) | instid1(VALU_DEP_3)
	v_dual_add_f32 v75, v150, v75 :: v_dual_add_f32 v78, v79, v78
	v_dual_fmamk_f32 v79, v112, 0xbf3f9e67, v86 :: v_dual_add_f32 v116, v210, v116
	v_fmamk_f32 v210, v112, 0x3df6dbef, v224
	v_dual_add_f32 v77, v80, v77 :: v_dual_add_f32 v84, v199, v84
	v_dual_add_f32 v78, v79, v78 :: v_dual_fmamk_f32 v79, v113, 0xbf788fa5, v88
	s_delay_alu instid0(VALU_DEP_3) | instskip(SKIP_2) | instid1(VALU_DEP_4)
	v_add_f32_e32 v116, v210, v116
	v_mul_f32_e32 v210, 0x3eedf032, v181
	v_dual_fmac_f32 v119, 0xbe750f2a, v106 :: v_dual_add_f32 v74, v74, v76
	v_add_f32_e32 v72, v79, v78
	v_fma_f32 v78, 0x3f62ad3f, v108, -v169
	s_delay_alu instid0(VALU_DEP_4) | instskip(NEXT) | instid1(VALU_DEP_4)
	v_fmamk_f32 v232, v113, 0x3f62ad3f, v210
	v_dual_add_f32 v76, v81, v119 :: v_dual_fmac_f32 v217, 0xbf52af12, v106
	v_fmac_f32_e32 v205, 0x3eedf032, v102
	s_delay_alu instid0(VALU_DEP_4) | instskip(SKIP_4) | instid1(VALU_DEP_4)
	v_add_f32_e32 v77, v78, v77
	v_fma_f32 v78, 0xbf3f9e67, v109, -v172
	v_add_f32_e32 v116, v232, v116
	v_add_f32_e32 v76, v152, v76
	v_dual_fmac_f32 v164, 0xbf29c268, v104 :: v_dual_add_f32 v79, v81, v179
	v_add_f32_e32 v77, v78, v77
	v_fma_f32 v78, 0x3f116cb1, v111, -v175
	s_delay_alu instid0(VALU_DEP_3) | instskip(NEXT) | instid1(VALU_DEP_4)
	v_dual_fmac_f32 v223, 0x3f29c268, v102 :: v_dual_add_f32 v76, v164, v76
	v_add_f32_e32 v79, v180, v79
	v_fma_f32 v82, 0x3df6dbef, v113, -v183
	s_delay_alu instid0(VALU_DEP_4) | instskip(SKIP_4) | instid1(VALU_DEP_4)
	v_add_f32_e32 v77, v78, v77
	v_fma_f32 v78, 0xbeb58ec6, v112, -v178
	v_dual_add_f32 v76, v166, v76 :: v_dual_fmac_f32 v227, 0x3f7e222b, v105
	v_add_f32_e32 v94, v81, v217
	v_fmac_f32_e32 v220, 0xbf6f5d39, v103
	v_add_f32_e32 v78, v78, v77
	v_fmac_f32_e32 v230, 0xbeedf032, v106
	v_dual_add_f32 v76, v171, v76 :: v_dual_add_f32 v79, v182, v79
	s_delay_alu instid0(VALU_DEP_4) | instskip(SKIP_1) | instid1(VALU_DEP_3)
	v_dual_add_f32 v94, v220, v94 :: v_dual_fmac_f32 v219, 0xbe750f2a, v104
	v_fma_f32 v83, 0xbf3f9e67, v107, -v184
	v_dual_add_f32 v77, v176, v76 :: v_dual_add_f32 v76, v82, v78
	s_delay_alu instid0(VALU_DEP_3) | instskip(SKIP_2) | instid1(VALU_DEP_3)
	v_dual_add_f32 v79, v185, v79 :: v_dual_add_f32 v94, v219, v94
	v_fmac_f32_e32 v118, 0xbf7e222b, v104
	v_fmac_f32_e32 v228, 0x3eedf032, v110
	v_dual_fmac_f32 v91, 0xbf29c268, v105 :: v_dual_add_f32 v78, v187, v79
	s_delay_alu instid0(VALU_DEP_4)
	v_add_f32_e32 v94, v223, v94
	v_add_f32_e32 v82, v80, v83
	v_fma_f32 v83, 0x3df6dbef, v108, -v186
	v_fma_f32 v92, 0xbf788fa5, v112, -v204
	v_add_f32_e32 v79, v190, v78
	v_fma_f32 v78, 0xbeb58ec6, v107, -v196
	v_fma_f32 v95, 0xbf3f9e67, v113, -v221
	;; [unrolled: 3-line block ×3, first 2 shown]
	v_dual_add_f32 v78, v80, v78 :: v_dual_fmac_f32 v207, 0x3f6f5d39, v104
	v_fma_f32 v89, 0x3df6dbef, v109, -v89
	s_delay_alu instid0(VALU_DEP_4) | instskip(SKIP_1) | instid1(VALU_DEP_4)
	v_add_f32_e32 v82, v83, v82
	v_fma_f32 v83, 0xbf788fa5, v111, -v189
	v_add_f32_e32 v78, v85, v78
	v_fma_f32 v85, 0x3f62ad3f, v109, -v201
	v_fma_f32 v86, 0xbf3f9e67, v112, -v86
	s_delay_alu instid0(VALU_DEP_4) | instskip(SKIP_1) | instid1(VALU_DEP_4)
	v_add_f32_e32 v82, v83, v82
	v_fma_f32 v83, 0x3f62ad3f, v112, -v192
	v_add_f32_e32 v78, v85, v78
	v_fma_f32 v85, 0x3df6dbef, v111, -v200
	s_delay_alu instid0(VALU_DEP_3) | instskip(SKIP_1) | instid1(VALU_DEP_3)
	v_add_f32_e32 v82, v83, v82
	v_fma_f32 v83, 0xbeb58ec6, v113, -v195
	v_add_f32_e32 v85, v85, v78
	v_fma_f32 v88, 0xbf788fa5, v113, -v88
	s_delay_alu instid0(VALU_DEP_3) | instskip(SKIP_1) | instid1(VALU_DEP_4)
	v_add_f32_e32 v78, v83, v82
	v_fma_f32 v82, 0x3df6dbef, v107, -v209
	v_dual_add_f32 v83, v202, v84 :: v_dual_add_f32 v84, v92, v85
	v_fma_f32 v92, 0xbf788fa5, v108, -v212
	s_delay_alu instid0(VALU_DEP_3) | instskip(SKIP_1) | instid1(VALU_DEP_2)
	v_dual_add_f32 v85, v81, v203 :: v_dual_add_f32 v82, v80, v82
	v_add_f32_e32 v81, v81, v230
	v_dual_add_f32 v74, v149, v74 :: v_dual_add_f32 v85, v206, v85
	s_delay_alu instid0(VALU_DEP_3) | instskip(SKIP_1) | instid1(VALU_DEP_4)
	v_add_f32_e32 v82, v92, v82
	v_fma_f32 v92, 0xbeb58ec6, v109, -v215
	v_add_f32_e32 v81, v233, v81
	s_delay_alu instid0(VALU_DEP_2) | instskip(SKIP_1) | instid1(VALU_DEP_3)
	v_dual_add_f32 v85, v207, v85 :: v_dual_add_f32 v82, v92, v82
	v_fma_f32 v92, 0x3f62ad3f, v111, -v214
	v_add_f32_e32 v81, v118, v81
	s_delay_alu instid0(VALU_DEP_2) | instskip(SKIP_1) | instid1(VALU_DEP_3)
	v_dual_add_f32 v85, v205, v85 :: v_dual_add_f32 v82, v92, v82
	v_fma_f32 v92, 0x3f116cb1, v112, -v211
	v_add_f32_e32 v81, v151, v81
	s_delay_alu instid0(VALU_DEP_2) | instskip(SKIP_2) | instid1(VALU_DEP_4)
	v_dual_add_f32 v85, v213, v85 :: v_dual_add_f32 v92, v92, v82
	v_dual_add_f32 v82, v93, v84 :: v_dual_add_f32 v93, v227, v94
	v_fma_f32 v94, 0x3f62ad3f, v107, -v165
	v_add_f32_e32 v91, v91, v81
	s_delay_alu instid0(VALU_DEP_4) | instskip(SKIP_4) | instid1(VALU_DEP_4)
	v_add_f32_e32 v84, v95, v92
	v_fma_f32 v92, 0x3f116cb1, v107, -v222
	v_fma_f32 v95, 0xbeb58ec6, v108, -v226
	v_add_f32_e32 v85, v216, v85
	v_add_f32_e32 v81, v228, v93
	v_dual_add_f32 v87, v87, v91 :: v_dual_add_f32 v92, v80, v92
	v_add_f32_e32 v80, v80, v94
	v_fma_f32 v94, 0xbf788fa5, v109, -v229
	s_delay_alu instid0(VALU_DEP_3) | instskip(NEXT) | instid1(VALU_DEP_3)
	v_add_f32_e32 v92, v95, v92
	v_add_f32_e32 v80, v90, v80
	s_delay_alu instid0(VALU_DEP_2) | instskip(SKIP_1) | instid1(VALU_DEP_3)
	v_add_f32_e32 v90, v94, v92
	v_fma_f32 v92, 0xbf3f9e67, v111, -v225
	v_add_f32_e32 v80, v89, v80
	v_fma_f32 v89, 0xbeb58ec6, v111, -v159
	s_delay_alu instid0(VALU_DEP_3) | instskip(SKIP_1) | instid1(VALU_DEP_1)
	v_add_f32_e32 v90, v92, v90
	v_fma_f32 v92, 0x3df6dbef, v112, -v224
	v_dual_add_f32 v80, v89, v80 :: v_dual_add_f32 v89, v92, v90
	v_fma_f32 v90, 0x3f62ad3f, v113, -v210
	s_delay_alu instid0(VALU_DEP_2) | instskip(SKIP_1) | instid1(VALU_DEP_3)
	v_add_f32_e32 v86, v86, v80
	v_lshl_add_u32 v92, v157, 3, v156
	v_add_f32_e32 v80, v90, v89
	s_delay_alu instid0(VALU_DEP_3)
	v_add_f32_e32 v86, v88, v86
	ds_store_2addr_b64 v92, v[74:75], v[72:73] offset1:1
	ds_store_2addr_b64 v92, v[116:117], v[114:115] offset0:2 offset1:3
	ds_store_2addr_b64 v92, v[100:101], v[98:99] offset0:4 offset1:5
	;; [unrolled: 1-line block ×5, first 2 shown]
	ds_store_b64 v92, v[86:87] offset:96
.LBB0_13:
	s_wait_alu 0xfffe
	s_or_b32 exec_lo, exec_lo, s0
	global_wb scope:SCOPE_SE
	s_wait_dscnt 0x0
	s_barrier_signal -1
	s_barrier_wait -1
	global_inv scope:SCOPE_SE
	ds_load_2addr_b64 v[72:75], v154 offset0:52 offset1:65
	ds_load_2addr_b64 v[85:88], v154 offset0:130 offset1:143
	;; [unrolled: 1-line block ×3, first 2 shown]
	v_add_nc_u32_e32 v84, 0x800, v154
	s_mov_b32 s2, 0x7f9b2ce6
	s_mov_b32 s3, 0x3f6934c6
	s_wait_dscnt 0x2
	v_mul_f32_e32 v119, v5, v75
	ds_load_2addr_b64 v[80:83], v154 offset1:13
	ds_load_2addr_b64 v[93:96], v154 offset0:78 offset1:91
	ds_load_2addr_b64 v[97:100], v84 offset0:4 offset1:17
	;; [unrolled: 1-line block ×7, first 2 shown]
	ds_load_b64 v[117:118], v154 offset:2496
	ds_load_2addr_b64 v[149:152], v84 offset0:30 offset1:43
	s_wait_dscnt 0xb
	v_dual_mul_f32 v156, v5, v74 :: v_dual_mul_f32 v159, v7, v85
	s_wait_dscnt 0xa
	v_dual_mul_f32 v157, v7, v86 :: v_dual_mul_f32 v164, v1, v92
	v_mul_f32_e32 v165, v1, v91
	v_fmac_f32_e32 v119, v4, v74
	v_fma_f32 v74, v4, v75, -v156
	s_delay_alu instid0(VALU_DEP_4)
	v_dual_mul_f32 v156, v7, v88 :: v_dual_fmac_f32 v157, v6, v85
	v_fmac_f32_e32 v164, v0, v91
	v_fma_f32 v75, v6, v86, -v159
	global_wb scope:SCOPE_SE
	s_wait_dscnt 0x0
	v_mul_f32_e32 v86, v3, v98
	v_fma_f32 v85, v0, v92, -v165
	v_dual_mul_f32 v91, v3, v97 :: v_dual_mul_f32 v92, v5, v94
	v_dual_mul_f32 v5, v5, v93 :: v_dual_fmac_f32 v156, v6, v87
	s_delay_alu instid0(VALU_DEP_4) | instskip(NEXT) | instid1(VALU_DEP_3)
	v_fmac_f32_e32 v86, v2, v97
	v_fma_f32 v91, v2, v98, -v91
	s_delay_alu instid0(VALU_DEP_4) | instskip(NEXT) | instid1(VALU_DEP_4)
	v_fmac_f32_e32 v92, v4, v93
	v_fma_f32 v93, v4, v94, -v5
	v_dual_mul_f32 v4, v7, v87 :: v_dual_mul_f32 v87, v1, v102
	v_dual_mul_f32 v1, v1, v101 :: v_dual_mul_f32 v94, v3, v100
	v_mul_f32_e32 v3, v3, v99
	s_delay_alu instid0(VALU_DEP_3) | instskip(NEXT) | instid1(VALU_DEP_4)
	v_fma_f32 v88, v6, v88, -v4
	v_fmac_f32_e32 v87, v0, v101
	s_delay_alu instid0(VALU_DEP_4) | instskip(SKIP_4) | instid1(VALU_DEP_4)
	v_fma_f32 v97, v0, v102, -v1
	v_dual_fmac_f32 v94, v2, v99 :: v_dual_mul_f32 v99, v29, v96
	v_dual_mul_f32 v0, v29, v95 :: v_dual_mul_f32 v1, v31, v105
	v_fma_f32 v98, v2, v100, -v3
	v_dual_mul_f32 v100, v31, v106 :: v_dual_mul_f32 v31, v25, v104
	v_fmac_f32_e32 v99, v28, v95
	s_delay_alu instid0(VALU_DEP_4) | instskip(SKIP_1) | instid1(VALU_DEP_4)
	v_fma_f32 v95, v28, v96, -v0
	v_fma_f32 v96, v30, v106, -v1
	v_fmac_f32_e32 v100, v30, v105
	v_dual_mul_f32 v0, v25, v103 :: v_dual_mul_f32 v29, v27, v150
	v_dual_mul_f32 v1, v27, v149 :: v_dual_mul_f32 v106, v17, v114
	v_dual_fmac_f32 v31, v24, v103 :: v_dual_mul_f32 v2, v21, v109
	v_mul_f32_e32 v101, v21, v110
	s_delay_alu instid0(VALU_DEP_4)
	v_fma_f32 v102, v24, v104, -v0
	v_mul_f32_e32 v0, v23, v107
	v_fma_f32 v103, v26, v150, -v1
	v_dual_mul_f32 v105, v23, v108 :: v_dual_fmac_f32 v106, v16, v113
	v_mul_f32_e32 v1, v17, v113
	v_fmac_f32_e32 v29, v26, v149
	v_fmac_f32_e32 v101, v20, v109
	s_delay_alu instid0(VALU_DEP_4)
	v_fmac_f32_e32 v105, v22, v107
	v_fma_f32 v107, v22, v108, -v0
	v_fma_f32 v108, v16, v114, -v1
	v_mul_f32_e32 v0, v19, v151
	v_mul_f32_e32 v16, v15, v90
	;; [unrolled: 1-line block ×3, first 2 shown]
	v_fma_f32 v104, v20, v110, -v2
	v_dual_mul_f32 v1, v13, v111 :: v_dual_sub_f32 v4, v119, v157
	v_fma_f32 v110, v18, v152, -v0
	v_fmac_f32_e32 v16, v14, v89
	v_dual_fmac_f32 v109, v18, v151 :: v_dual_add_f32 v0, v157, v164
	v_dual_mul_f32 v2, v15, v89 :: v_dual_sub_f32 v3, v74, v91
	v_sub_f32_e32 v5, v75, v85
	v_mul_f32_e32 v15, v9, v116
	s_delay_alu instid0(VALU_DEP_4) | instskip(SKIP_4) | instid1(VALU_DEP_4)
	v_fma_f32 v0, -0.5, v0, v80
	v_mul_f32_e32 v17, v13, v112
	v_fma_f32 v13, v14, v90, -v2
	v_add_f32_e32 v2, v80, v119
	v_sub_f32_e32 v6, v86, v164
	v_dual_add_f32 v18, v75, v85 :: v_dual_fmac_f32 v17, v12, v111
	v_fma_f32 v12, v12, v112, -v1
	v_mul_f32_e32 v1, v9, v115
	v_mul_f32_e32 v111, v11, v118
	v_dual_add_f32 v9, v4, v6 :: v_dual_sub_f32 v20, v91, v85
	v_dual_sub_f32 v19, v157, v164 :: v_dual_sub_f32 v24, v94, v87
	s_delay_alu instid0(VALU_DEP_4) | instskip(SKIP_2) | instid1(VALU_DEP_2)
	v_fma_f32 v14, v8, v116, -v1
	v_dual_add_f32 v1, v2, v157 :: v_dual_fmamk_f32 v2, v3, 0xbf737871, v0
	v_dual_fmac_f32 v0, 0x3f737871, v3 :: v_dual_add_f32 v7, v119, v86
	v_dual_add_f32 v22, v156, v87 :: v_dual_add_f32 v1, v1, v164
	s_delay_alu instid0(VALU_DEP_3) | instskip(SKIP_1) | instid1(VALU_DEP_4)
	v_dual_fmac_f32 v2, 0xbf167918, v5 :: v_dual_fmac_f32 v15, v8, v115
	v_mul_f32_e32 v8, v11, v117
	v_fma_f32 v4, -0.5, v7, v80
	v_fmac_f32_e32 v111, v10, v117
	v_add_f32_e32 v11, v81, v74
	v_sub_f32_e32 v25, v93, v98
	v_fma_f32 v10, v10, v118, -v8
	v_add_f32_e32 v8, v1, v86
	v_fmamk_f32 v6, v5, 0x3f737871, v4
	v_sub_f32_e32 v1, v157, v119
	v_sub_f32_e32 v7, v164, v86
	v_dual_sub_f32 v21, v85, v91 :: v_dual_add_f32 v26, v92, v94
	s_delay_alu instid0(VALU_DEP_4) | instskip(NEXT) | instid1(VALU_DEP_3)
	v_fmac_f32_e32 v6, 0xbf167918, v3
	v_dual_sub_f32 v28, v98, v97 :: v_dual_add_f32 v7, v1, v7
	v_fma_f32 v1, -0.5, v18, v81
	v_sub_f32_e32 v18, v74, v75
	v_sub_f32_e32 v80, v95, v103
	v_sub_f32_e32 v30, v92, v94
	v_fmac_f32_e32 v6, 0x3e9e377a, v7
	v_fmac_f32_e32 v4, 0xbf737871, v5
	v_dual_fmac_f32 v0, 0x3f167918, v5 :: v_dual_add_f32 v5, v11, v75
	v_add_f32_e32 v20, v18, v20
	v_fmac_f32_e32 v2, 0x3e9e377a, v9
	s_delay_alu instid0(VALU_DEP_4) | instskip(NEXT) | instid1(VALU_DEP_4)
	v_dual_fmac_f32 v4, 0x3f167918, v3 :: v_dual_sub_f32 v11, v119, v86
	v_fmac_f32_e32 v0, 0x3e9e377a, v9
	v_dual_add_f32 v9, v5, v85 :: v_dual_sub_f32 v18, v75, v74
	s_delay_alu instid0(VALU_DEP_3) | instskip(NEXT) | instid1(VALU_DEP_4)
	v_fmac_f32_e32 v4, 0x3e9e377a, v7
	v_fmamk_f32 v3, v11, 0x3f737871, v1
	v_fmac_f32_e32 v1, 0xbf737871, v11
	s_delay_alu instid0(VALU_DEP_4)
	v_add_f32_e32 v9, v9, v91
	v_add_f32_e32 v21, v18, v21
	v_fma_f32 v18, -0.5, v22, v82
	v_add_f32_e32 v5, v74, v91
	v_fmac_f32_e32 v3, 0x3f167918, v19
	v_dual_fmac_f32 v1, 0xbf167918, v19 :: v_dual_sub_f32 v22, v92, v156
	v_dual_add_f32 v74, v100, v31 :: v_dual_add_f32 v85, v99, v29
	v_sub_f32_e32 v89, v109, v106
	s_delay_alu instid0(VALU_DEP_3) | instskip(NEXT) | instid1(VALU_DEP_4)
	v_fmac_f32_e32 v1, 0x3e9e377a, v20
	v_add_f32_e32 v27, v22, v24
	v_fmac_f32_e32 v3, 0x3e9e377a, v20
	v_dual_add_f32 v23, v82, v92 :: v_dual_fmamk_f32 v20, v25, 0xbf737871, v18
	v_fma_f32 v5, -0.5, v5, v81
	v_fma_f32 v82, -0.5, v26, v82
	v_dual_add_f32 v26, v88, v97 :: v_dual_sub_f32 v81, v29, v31
	s_delay_alu instid0(VALU_DEP_3)
	v_dual_add_f32 v86, v96, v102 :: v_dual_fmamk_f32 v7, v19, 0xbf737871, v5
	v_fmac_f32_e32 v5, 0x3f737871, v19
	v_add_f32_e32 v19, v23, v156
	v_sub_f32_e32 v23, v88, v97
	v_add_f32_e32 v91, v101, v109
	v_fmac_f32_e32 v7, 0x3f167918, v11
	v_fmac_f32_e32 v5, 0xbf167918, v11
	s_barrier_signal -1
	v_fmamk_f32 v24, v23, 0x3f737871, v82
	v_fmac_f32_e32 v18, 0x3f737871, v25
	v_fmac_f32_e32 v82, 0xbf737871, v23
	s_barrier_wait -1
	global_inv scope:SCOPE_SE
	v_fmac_f32_e32 v24, 0xbf167918, v25
	v_fmac_f32_e32 v18, 0x3f167918, v23
	v_dual_add_f32 v11, v19, v87 :: v_dual_fmac_f32 v82, 0x3f167918, v25
	v_sub_f32_e32 v19, v87, v94
	v_sub_f32_e32 v90, v104, v110
	s_delay_alu instid0(VALU_DEP_4) | instskip(NEXT) | instid1(VALU_DEP_4)
	v_fmac_f32_e32 v18, 0x3e9e377a, v27
	v_dual_add_f32 v22, v11, v94 :: v_dual_sub_f32 v11, v156, v92
	v_add_f32_e32 v92, v107, v108
	s_delay_alu instid0(VALU_DEP_2) | instskip(SKIP_2) | instid1(VALU_DEP_3)
	v_dual_sub_f32 v94, v110, v108 :: v_dual_add_f32 v11, v11, v19
	v_fma_f32 v19, -0.5, v26, v83
	v_sub_f32_e32 v26, v93, v88
	v_fmac_f32_e32 v82, 0x3e9e377a, v11
	v_fmac_f32_e32 v20, 0xbf167918, v23
	v_dual_fmac_f32 v7, 0x3e9e377a, v21 :: v_dual_fmac_f32 v24, 0x3e9e377a, v11
	s_delay_alu instid0(VALU_DEP_4) | instskip(SKIP_1) | instid1(VALU_DEP_4)
	v_dual_add_f32 v11, v26, v28 :: v_dual_sub_f32 v26, v88, v93
	v_dual_fmac_f32 v5, 0x3e9e377a, v21 :: v_dual_sub_f32 v28, v97, v98
	v_dual_add_f32 v21, v83, v93 :: v_dual_fmac_f32 v20, 0x3e9e377a, v27
	s_delay_alu instid0(VALU_DEP_2) | instskip(NEXT) | instid1(VALU_DEP_2)
	v_dual_add_f32 v75, v26, v28 :: v_dual_add_f32 v28, v76, v99
	v_add_f32_e32 v21, v21, v88
	v_fma_f32 v26, -0.5, v74, v76
	v_dual_sub_f32 v74, v99, v100 :: v_dual_add_f32 v25, v93, v98
	v_sub_f32_e32 v93, v104, v107
	s_delay_alu instid0(VALU_DEP_4)
	v_add_f32_e32 v23, v21, v97
	v_fmamk_f32 v21, v30, 0x3f737871, v19
	v_fmac_f32_e32 v19, 0xbf737871, v30
	v_add_f32_e32 v81, v74, v81
	v_sub_f32_e32 v27, v156, v87
	v_sub_f32_e32 v87, v103, v102
	v_sub_f32_e32 v97, v111, v15
	s_delay_alu instid0(VALU_DEP_3) | instskip(SKIP_1) | instid1(VALU_DEP_2)
	v_fmac_f32_e32 v21, 0x3f167918, v27
	v_fmac_f32_e32 v19, 0xbf167918, v27
	;; [unrolled: 1-line block ×3, first 2 shown]
	s_delay_alu instid0(VALU_DEP_2) | instskip(SKIP_3) | instid1(VALU_DEP_1)
	v_fmac_f32_e32 v19, 0x3e9e377a, v11
	v_add_f32_e32 v11, v28, v100
	v_fmamk_f32 v28, v80, 0xbf737871, v26
	v_dual_fmac_f32 v26, 0x3f737871, v80 :: v_dual_fmac_f32 v83, -0.5, v25
	v_fmamk_f32 v25, v27, 0xbf737871, v83
	v_fmac_f32_e32 v83, 0x3f737871, v27
	v_sub_f32_e32 v27, v96, v102
	s_delay_alu instid0(VALU_DEP_3) | instskip(NEXT) | instid1(VALU_DEP_3)
	v_fmac_f32_e32 v25, 0x3f167918, v30
	v_fmac_f32_e32 v83, 0xbf167918, v30
	v_fma_f32 v30, -0.5, v85, v76
	v_add_f32_e32 v85, v77, v95
	s_delay_alu instid0(VALU_DEP_3) | instskip(NEXT) | instid1(VALU_DEP_3)
	v_fmac_f32_e32 v83, 0x3e9e377a, v75
	v_fmamk_f32 v76, v27, 0x3f737871, v30
	v_fmac_f32_e32 v30, 0xbf737871, v27
	s_delay_alu instid0(VALU_DEP_2) | instskip(NEXT) | instid1(VALU_DEP_2)
	v_fmac_f32_e32 v76, 0xbf167918, v80
	v_fmac_f32_e32 v30, 0x3f167918, v80
	v_add_f32_e32 v80, v95, v103
	v_add_f32_e32 v11, v11, v31
	v_fmac_f32_e32 v25, 0x3e9e377a, v75
	v_sub_f32_e32 v75, v31, v29
	s_delay_alu instid0(VALU_DEP_3) | instskip(NEXT) | instid1(VALU_DEP_1)
	v_dual_add_f32 v74, v11, v29 :: v_dual_sub_f32 v11, v100, v99
	v_add_f32_e32 v11, v11, v75
	v_add_f32_e32 v75, v85, v96
	s_delay_alu instid0(VALU_DEP_2)
	v_dual_sub_f32 v85, v95, v96 :: v_dual_fmac_f32 v30, 0x3e9e377a, v11
	v_dual_add_f32 v23, v23, v98 :: v_dual_fmac_f32 v26, 0x3f167918, v27
	v_fmac_f32_e32 v28, 0xbf167918, v27
	v_fma_f32 v27, -0.5, v86, v77
	v_sub_f32_e32 v86, v99, v29
	v_fmac_f32_e32 v76, 0x3e9e377a, v11
	v_fmac_f32_e32 v26, 0x3e9e377a, v81
	v_dual_fmac_f32 v28, 0x3e9e377a, v81 :: v_dual_sub_f32 v81, v100, v31
	s_delay_alu instid0(VALU_DEP_4)
	v_fmamk_f32 v29, v86, 0x3f737871, v27
	v_fma_f32 v31, -0.5, v80, v77
	v_add_f32_e32 v11, v85, v87
	v_dual_fmac_f32 v27, 0xbf737871, v86 :: v_dual_add_f32 v98, v17, v111
	v_sub_f32_e32 v80, v96, v95
	v_sub_f32_e32 v85, v102, v103
	v_fmac_f32_e32 v29, 0x3f167918, v81
	s_delay_alu instid0(VALU_DEP_4) | instskip(SKIP_1) | instid1(VALU_DEP_4)
	v_fmac_f32_e32 v27, 0xbf167918, v81
	v_dual_fmamk_f32 v77, v81, 0xbf737871, v31 :: v_dual_sub_f32 v96, v12, v10
	v_add_f32_e32 v88, v80, v85
	v_add_f32_e32 v85, v78, v101
	v_fmac_f32_e32 v29, 0x3e9e377a, v11
	v_add_f32_e32 v87, v105, v106
	v_fmac_f32_e32 v31, 0x3f737871, v81
	;; [unrolled: 2-line block ×4, first 2 shown]
	v_fma_f32 v80, -0.5, v87, v78
	v_sub_f32_e32 v81, v107, v108
	v_sub_f32_e32 v87, v101, v105
	v_fmac_f32_e32 v31, 0xbf167918, v86
	v_add_f32_e32 v11, v11, v106
	v_fma_f32 v78, -0.5, v91, v78
	v_fmac_f32_e32 v77, 0x3e9e377a, v88
	v_dual_fmamk_f32 v85, v90, 0xbf737871, v80 :: v_dual_add_f32 v86, v87, v89
	v_fmac_f32_e32 v31, 0x3e9e377a, v88
	v_dual_add_f32 v87, v11, v109 :: v_dual_fmac_f32 v80, 0x3f737871, v90
	v_fmamk_f32 v89, v81, 0x3f737871, v78
	v_sub_f32_e32 v11, v105, v101
	v_dual_sub_f32 v88, v106, v109 :: v_dual_add_f32 v91, v79, v104
	v_fmac_f32_e32 v78, 0xbf737871, v81
	v_fmac_f32_e32 v85, 0xbf167918, v81
	;; [unrolled: 1-line block ×4, first 2 shown]
	v_add_f32_e32 v11, v11, v88
	v_add_f32_e32 v88, v91, v107
	;; [unrolled: 1-line block ×3, first 2 shown]
	v_fma_f32 v81, -0.5, v92, v79
	v_sub_f32_e32 v92, v101, v109
	v_fmac_f32_e32 v78, 0x3f167918, v90
	v_add_f32_e32 v90, v104, v110
	v_fmac_f32_e32 v85, 0x3e9e377a, v86
	v_dual_fmac_f32 v80, 0x3e9e377a, v86 :: v_dual_fmac_f32 v89, 0x3e9e377a, v11
	v_dual_fmamk_f32 v86, v92, 0x3f737871, v81 :: v_dual_sub_f32 v91, v105, v106
	s_delay_alu instid0(VALU_DEP_4)
	v_dual_fmac_f32 v78, 0x3e9e377a, v11 :: v_dual_fmac_f32 v79, -0.5, v90
	v_add_f32_e32 v11, v93, v94
	v_fmac_f32_e32 v81, 0xbf737871, v92
	v_dual_sub_f32 v93, v107, v104 :: v_dual_sub_f32 v94, v108, v110
	v_add_f32_e32 v95, v16, v15
	ds_store_2addr_b64 v154, v[8:9], v[2:3] offset1:13
	ds_store_2addr_b64 v154, v[6:7], v[4:5] offset0:26 offset1:39
	ds_store_2addr_b64 v154, v[0:1], v[22:23] offset0:52 offset1:65
	;; [unrolled: 1-line block ×4, first 2 shown]
	v_add_nc_u32_e32 v0, 0x800, v160
	v_fmac_f32_e32 v86, 0x3f167918, v91
	v_fmamk_f32 v90, v91, 0xbf737871, v79
	v_dual_fmac_f32 v81, 0xbf167918, v91 :: v_dual_add_f32 v94, v93, v94
	v_fmac_f32_e32 v79, 0x3f737871, v91
	v_add_f32_e32 v93, v72, v17
	v_fma_f32 v91, -0.5, v95, v72
	v_fmac_f32_e32 v86, 0x3e9e377a, v11
	v_fmac_f32_e32 v90, 0x3f167918, v92
	v_fmac_f32_e32 v81, 0x3e9e377a, v11
	v_fmac_f32_e32 v79, 0xbf167918, v92
	v_add_f32_e32 v11, v93, v16
	v_dual_fmamk_f32 v93, v96, 0xbf737871, v91 :: v_dual_sub_f32 v92, v13, v14
	v_sub_f32_e32 v95, v17, v16
	v_fmac_f32_e32 v91, 0x3f737871, v96
	v_fma_f32 v72, -0.5, v98, v72
	s_delay_alu instid0(VALU_DEP_4) | instskip(NEXT) | instid1(VALU_DEP_4)
	v_dual_sub_f32 v98, v15, v111 :: v_dual_fmac_f32 v93, 0xbf167918, v92
	v_add_f32_e32 v95, v95, v97
	s_delay_alu instid0(VALU_DEP_4) | instskip(SKIP_2) | instid1(VALU_DEP_4)
	v_fmac_f32_e32 v91, 0x3f167918, v92
	v_dual_sub_f32 v97, v16, v17 :: v_dual_fmac_f32 v90, 0x3e9e377a, v94
	v_fmac_f32_e32 v79, 0x3e9e377a, v94
	v_fmac_f32_e32 v93, 0x3e9e377a, v95
	s_delay_alu instid0(VALU_DEP_4) | instskip(SKIP_3) | instid1(VALU_DEP_3)
	v_fmac_f32_e32 v91, 0x3e9e377a, v95
	v_dual_fmamk_f32 v95, v92, 0x3f737871, v72 :: v_dual_add_f32 v94, v13, v14
	v_dual_fmac_f32 v72, 0xbf737871, v92 :: v_dual_add_f32 v97, v97, v98
	v_dual_add_f32 v98, v12, v10 :: v_dual_add_f32 v11, v11, v15
	v_fma_f32 v92, -0.5, v94, v73
	v_sub_f32_e32 v17, v17, v111
	v_fmac_f32_e32 v95, 0xbf167918, v96
	v_fmac_f32_e32 v72, 0x3f167918, v96
	v_dual_add_f32 v96, v99, v13 :: v_dual_sub_f32 v15, v16, v15
	s_delay_alu instid0(VALU_DEP_4) | instskip(NEXT) | instid1(VALU_DEP_4)
	v_dual_fmac_f32 v73, -0.5, v98 :: v_dual_fmamk_f32 v94, v17, 0x3f737871, v92
	v_fmac_f32_e32 v95, 0x3e9e377a, v97
	s_delay_alu instid0(VALU_DEP_4) | instskip(NEXT) | instid1(VALU_DEP_4)
	v_fmac_f32_e32 v72, 0x3e9e377a, v97
	v_add_f32_e32 v16, v96, v14
	v_dual_sub_f32 v97, v12, v13 :: v_dual_sub_f32 v98, v10, v14
	v_fmamk_f32 v96, v15, 0xbf737871, v73
	v_dual_sub_f32 v12, v13, v12 :: v_dual_sub_f32 v13, v14, v10
	v_fmac_f32_e32 v73, 0x3f737871, v15
	v_fmac_f32_e32 v92, 0xbf737871, v17
	v_add_f32_e32 v88, v88, v108
	v_fmac_f32_e32 v94, 0x3f167918, v15
	v_dual_add_f32 v14, v97, v98 :: v_dual_add_f32 v13, v12, v13
	v_fmac_f32_e32 v73, 0xbf167918, v17
	s_delay_alu instid0(VALU_DEP_4) | instskip(SKIP_4) | instid1(VALU_DEP_4)
	v_dual_add_f32 v75, v75, v103 :: v_dual_add_f32 v88, v88, v110
	v_fmac_f32_e32 v92, 0xbf167918, v15
	v_dual_fmac_f32 v96, 0x3f167918, v17 :: v_dual_add_f32 v11, v11, v111
	v_add_f32_e32 v12, v16, v10
	v_dual_fmac_f32 v94, 0x3e9e377a, v14 :: v_dual_fmac_f32 v73, 0x3e9e377a, v13
	v_fmac_f32_e32 v92, 0x3e9e377a, v14
	s_delay_alu instid0(VALU_DEP_4)
	v_fmac_f32_e32 v96, 0x3e9e377a, v13
	ds_store_2addr_b64 v161, v[74:75], v[28:29] offset0:130 offset1:143
	ds_store_2addr_b64 v161, v[76:77], v[30:31] offset0:156 offset1:169
	;; [unrolled: 1-line block ×6, first 2 shown]
	ds_store_b64 v161, v[26:27] offset:1456
	ds_store_b64 v162, v[80:81] offset:1976
	;; [unrolled: 1-line block ×3, first 2 shown]
	global_wb scope:SCOPE_SE
	s_wait_dscnt 0x0
	s_barrier_signal -1
	s_barrier_wait -1
	global_inv scope:SCOPE_SE
	ds_load_2addr_b64 v[0:3], v154 offset0:52 offset1:65
	ds_load_2addr_b64 v[12:15], v154 offset0:130 offset1:143
	;; [unrolled: 1-line block ×3, first 2 shown]
	ds_load_2addr_b64 v[8:11], v154 offset1:13
	ds_load_2addr_b64 v[20:23], v84 offset0:4 offset1:17
	ds_load_2addr_b64 v[24:27], v154 offset0:78 offset1:91
	;; [unrolled: 1-line block ×8, first 2 shown]
	ds_load_b64 v[89:90], v154 offset:2496
	s_wait_dscnt 0xc
	v_mul_f32_e32 v91, v57, v3
	s_wait_dscnt 0xa
	v_mul_f32_e32 v92, v65, v19
	v_mul_f32_e32 v65, v65, v18
	s_delay_alu instid0(VALU_DEP_3) | instskip(SKIP_1) | instid1(VALU_DEP_4)
	v_fmac_f32_e32 v91, v56, v2
	v_dual_mul_f32 v2, v57, v2 :: v_dual_mul_f32 v57, v59, v13
	v_dual_mul_f32 v59, v59, v12 :: v_dual_fmac_f32 v92, v64, v18
	s_delay_alu instid0(VALU_DEP_2)
	v_fma_f32 v56, v56, v3, -v2
	s_wait_dscnt 0x8
	v_mul_f32_e32 v2, v67, v20
	v_fmac_f32_e32 v57, v58, v12
	v_fma_f32 v58, v58, v13, -v59
	v_fma_f32 v59, v64, v19, -v65
	s_wait_dscnt 0x7
	v_mul_f32_e32 v64, v41, v25
	v_mul_f32_e32 v3, v41, v24
	;; [unrolled: 1-line block ×3, first 2 shown]
	v_fma_f32 v65, v66, v21, -v2
	v_mul_f32_e32 v2, v43, v14
	v_fmac_f32_e32 v64, v40, v24
	v_fma_f32 v40, v40, v25, -v3
	v_fmac_f32_e32 v41, v42, v14
	s_wait_dscnt 0x6
	v_dual_mul_f32 v3, v69, v28 :: v_dual_mul_f32 v12, v71, v22
	v_fma_f32 v42, v42, v15, -v2
	v_mul_f32_e32 v43, v69, v29
	s_delay_alu instid0(VALU_DEP_1)
	v_dual_mul_f32 v2, v53, v26 :: v_dual_fmac_f32 v43, v68, v28
	v_mul_f32_e32 v13, v67, v21
	v_fma_f32 v67, v68, v29, -v3
	v_fma_f32 v68, v70, v23, -v12
	v_mul_f32_e32 v69, v53, v27
	s_wait_dscnt 0x4
	v_mul_f32_e32 v53, v55, v73
	v_mul_f32_e32 v3, v55, v72
	v_dual_fmac_f32 v13, v66, v20 :: v_dual_mul_f32 v66, v71, v23
	v_mul_f32_e32 v55, v61, v31
	v_fmac_f32_e32 v69, v52, v26
	v_fma_f32 v52, v52, v27, -v2
	v_fmac_f32_e32 v53, v54, v72
	v_fma_f32 v54, v54, v73, -v3
	s_wait_dscnt 0x3
	v_dual_mul_f32 v2, v61, v30 :: v_dual_mul_f32 v61, v63, v77
	v_mul_f32_e32 v3, v63, v76
	s_wait_dscnt 0x2
	v_mul_f32_e32 v63, v37, v81
	v_mul_f32_e32 v12, v37, v80
	v_dual_fmac_f32 v66, v70, v22 :: v_dual_sub_f32 v37, v68, v67
	s_wait_dscnt 0x1
	s_delay_alu instid0(VALU_DEP_3) | instskip(NEXT) | instid1(VALU_DEP_3)
	v_dual_mul_f32 v72, v49, v86 :: v_dual_fmac_f32 v63, v36, v80
	v_fma_f32 v70, v36, v81, -v12
	v_sub_f32_e32 v36, v40, v42
	v_fmac_f32_e32 v55, v60, v30
	v_fma_f32 v60, v60, v31, -v2
	v_dual_fmac_f32 v61, v62, v76 :: v_dual_mul_f32 v2, v39, v74
	s_delay_alu instid0(VALU_DEP_4)
	v_add_f32_e32 v36, v36, v37
	v_fma_f32 v62, v62, v77, -v3
	v_mul_f32_e32 v71, v39, v75
	v_mul_f32_e32 v3, v49, v85
	;; [unrolled: 1-line block ×3, first 2 shown]
	v_fma_f32 v73, v38, v75, -v2
	v_mul_f32_e32 v2, v51, v78
	v_fmac_f32_e32 v71, v38, v74
	v_fma_f32 v74, v48, v86, -v3
	v_dual_mul_f32 v3, v45, v82 :: v_dual_mul_f32 v12, v47, v16
	v_fmac_f32_e32 v49, v50, v78
	v_fma_f32 v50, v50, v79, -v2
	v_add_f32_e32 v2, v57, v92
	s_delay_alu instid0(VALU_DEP_4)
	v_fma_f32 v18, v44, v83, -v3
	v_fma_f32 v19, v46, v17, -v12
	v_mul_f32_e32 v3, v33, v87
	s_wait_dscnt 0x0
	v_dual_mul_f32 v75, v35, v90 :: v_dual_add_f32 v12, v8, v91
	v_add_f32_e32 v24, v91, v13
	v_mul_f32_e32 v25, v35, v89
	v_mul_f32_e32 v20, v47, v17
	v_fma_f32 v2, -0.5, v2, v8
	v_fma_f32 v22, v32, v88, -v3
	v_fmac_f32_e32 v75, v34, v89
	v_fma_f32 v8, -0.5, v24, v8
	v_fma_f32 v24, v34, v90, -v25
	v_add_f32_e32 v34, v64, v66
	v_dual_add_f32 v3, v12, v57 :: v_dual_fmac_f32 v20, v46, v16
	v_sub_f32_e32 v15, v56, v65
	v_dual_sub_f32 v17, v58, v59 :: v_dual_sub_f32 v14, v91, v57
	v_sub_f32_e32 v16, v13, v92
	s_delay_alu instid0(VALU_DEP_4) | instskip(NEXT) | instid1(VALU_DEP_4)
	v_add_f32_e32 v3, v3, v92
	v_fmamk_f32 v12, v15, 0xbf737871, v2
	v_dual_fmac_f32 v2, 0x3f737871, v15 :: v_dual_sub_f32 v25, v92, v13
	s_delay_alu instid0(VALU_DEP_4) | instskip(NEXT) | instid1(VALU_DEP_4)
	v_add_f32_e32 v26, v14, v16
	v_add_f32_e32 v14, v3, v13
	v_fmamk_f32 v16, v17, 0x3f737871, v8
	v_sub_f32_e32 v3, v57, v91
	v_dual_add_f32 v27, v9, v56 :: v_dual_fmac_f32 v8, 0xbf737871, v17
	v_fmac_f32_e32 v12, 0xbf167918, v17
	v_fmac_f32_e32 v2, 0x3f167918, v17
	s_delay_alu instid0(VALU_DEP_4) | instskip(NEXT) | instid1(VALU_DEP_4)
	v_dual_add_f32 v28, v58, v59 :: v_dual_add_f32 v25, v3, v25
	v_dual_add_f32 v17, v27, v58 :: v_dual_fmac_f32 v8, 0x3f167918, v15
	v_fmac_f32_e32 v16, 0xbf167918, v15
	s_delay_alu instid0(VALU_DEP_3) | instskip(SKIP_1) | instid1(VALU_DEP_4)
	v_fma_f32 v3, -0.5, v28, v9
	v_sub_f32_e32 v27, v56, v58
	v_add_f32_e32 v15, v17, v59
	v_add_f32_e32 v17, v56, v65
	v_dual_sub_f32 v29, v65, v59 :: v_dual_fmac_f32 v8, 0x3e9e377a, v25
	v_sub_f32_e32 v28, v91, v13
	v_fmac_f32_e32 v72, v48, v85
	v_fmac_f32_e32 v12, 0x3e9e377a, v26
	;; [unrolled: 1-line block ×4, first 2 shown]
	v_dual_fmamk_f32 v13, v28, 0x3f737871, v3 :: v_dual_sub_f32 v26, v57, v92
	v_fma_f32 v9, -0.5, v17, v9
	v_add_f32_e32 v27, v27, v29
	v_fmac_f32_e32 v3, 0xbf737871, v28
	v_sub_f32_e32 v25, v58, v56
	v_dual_sub_f32 v29, v59, v65 :: v_dual_add_f32 v30, v41, v43
	v_add_f32_e32 v31, v10, v64
	v_fmac_f32_e32 v13, 0x3f167918, v26
	v_dual_fmamk_f32 v17, v26, 0xbf737871, v9 :: v_dual_sub_f32 v48, v73, v74
	v_fmac_f32_e32 v3, 0xbf167918, v26
	v_add_f32_e32 v29, v25, v29
	v_fma_f32 v25, -0.5, v30, v10
	v_fmac_f32_e32 v9, 0x3f737871, v26
	v_fma_f32 v10, -0.5, v34, v10
	v_add_f32_e32 v34, v11, v40
	v_dual_add_f32 v26, v31, v41 :: v_dual_mul_f32 v23, v33, v88
	v_fmac_f32_e32 v17, 0x3f167918, v28
	v_sub_f32_e32 v30, v40, v68
	v_sub_f32_e32 v31, v64, v41
	v_sub_f32_e32 v33, v66, v43
	v_dual_fmac_f32 v9, 0xbf167918, v28 :: v_dual_add_f32 v26, v26, v43
	v_fmac_f32_e32 v23, v32, v87
	v_fmac_f32_e32 v13, 0x3e9e377a, v27
	;; [unrolled: 1-line block ×4, first 2 shown]
	v_fmamk_f32 v27, v30, 0xbf737871, v25
	v_sub_f32_e32 v32, v42, v67
	v_add_f32_e32 v28, v31, v33
	v_fmac_f32_e32 v9, 0x3e9e377a, v29
	v_add_f32_e32 v29, v26, v66
	v_dual_fmac_f32 v25, 0x3f737871, v30 :: v_dual_sub_f32 v26, v41, v64
	v_sub_f32_e32 v33, v43, v66
	v_add_f32_e32 v35, v42, v67
	v_fmac_f32_e32 v27, 0xbf167918, v32
	v_fmamk_f32 v31, v32, 0x3f737871, v10
	v_fmac_f32_e32 v25, 0x3f167918, v32
	v_dual_add_f32 v33, v26, v33 :: v_dual_fmac_f32 v10, 0xbf737871, v32
	v_add_f32_e32 v32, v34, v42
	v_fma_f32 v26, -0.5, v35, v11
	v_dual_sub_f32 v34, v64, v66 :: v_dual_fmac_f32 v27, 0x3e9e377a, v28
	v_fmac_f32_e32 v31, 0xbf167918, v30
	v_fmac_f32_e32 v25, 0x3e9e377a, v28
	;; [unrolled: 1-line block ×3, first 2 shown]
	v_add_f32_e32 v30, v32, v67
	v_fmamk_f32 v28, v34, 0x3f737871, v26
	v_dual_add_f32 v32, v40, v68 :: v_dual_sub_f32 v35, v41, v43
	v_fmac_f32_e32 v26, 0xbf737871, v34
	v_fmac_f32_e32 v10, 0x3e9e377a, v33
	v_add_f32_e32 v39, v4, v69
	s_delay_alu instid0(VALU_DEP_4)
	v_dual_fmac_f32 v11, -0.5, v32 :: v_dual_sub_f32 v56, v19, v22
	v_fmac_f32_e32 v28, 0x3f167918, v35
	v_mul_f32_e32 v21, v45, v83
	v_fmac_f32_e32 v26, 0xbf167918, v35
	v_dual_fmac_f32 v31, 0x3e9e377a, v33 :: v_dual_add_f32 v30, v30, v68
	v_dual_fmamk_f32 v32, v35, 0xbf737871, v11 :: v_dual_sub_f32 v33, v42, v40
	v_fmac_f32_e32 v28, 0x3e9e377a, v36
	v_add_f32_e32 v38, v53, v55
	v_fmac_f32_e32 v26, 0x3e9e377a, v36
	v_dual_fmac_f32 v11, 0x3f737871, v35 :: v_dual_add_f32 v36, v39, v53
	v_dual_fmac_f32 v21, v44, v82 :: v_dual_add_f32 v42, v69, v61
	v_dual_sub_f32 v37, v67, v68 :: v_dual_fmac_f32 v32, 0x3f167918, v34
	v_sub_f32_e32 v39, v69, v53
	v_sub_f32_e32 v41, v61, v55
	v_fmac_f32_e32 v11, 0xbf167918, v34
	s_delay_alu instid0(VALU_DEP_4)
	v_add_f32_e32 v37, v33, v37
	v_fma_f32 v33, -0.5, v38, v4
	v_sub_f32_e32 v38, v52, v62
	v_add_f32_e32 v34, v36, v55
	v_sub_f32_e32 v40, v54, v60
	v_fmac_f32_e32 v32, 0x3e9e377a, v37
	s_delay_alu instid0(VALU_DEP_4)
	v_dual_add_f32 v36, v39, v41 :: v_dual_fmamk_f32 v35, v38, 0xbf737871, v33
	v_fma_f32 v4, -0.5, v42, v4
	v_fmac_f32_e32 v11, 0x3e9e377a, v37
	v_add_f32_e32 v37, v34, v61
	v_dual_fmac_f32 v33, 0x3f737871, v38 :: v_dual_sub_f32 v34, v53, v69
	v_dual_sub_f32 v41, v55, v61 :: v_dual_add_f32 v42, v5, v52
	v_add_f32_e32 v43, v54, v60
	v_fmamk_f32 v39, v40, 0x3f737871, v4
	s_delay_alu instid0(VALU_DEP_4) | instskip(NEXT) | instid1(VALU_DEP_4)
	v_fmac_f32_e32 v33, 0x3f167918, v40
	v_dual_add_f32 v41, v34, v41 :: v_dual_fmac_f32 v4, 0xbf737871, v40
	v_dual_fmac_f32 v35, 0xbf167918, v40 :: v_dual_add_f32 v40, v42, v54
	v_fma_f32 v34, -0.5, v43, v5
	v_dual_sub_f32 v42, v69, v61 :: v_dual_fmac_f32 v39, 0xbf167918, v38
	s_delay_alu instid0(VALU_DEP_3)
	v_fmac_f32_e32 v35, 0x3e9e377a, v36
	v_fmac_f32_e32 v33, 0x3e9e377a, v36
	;; [unrolled: 1-line block ×3, first 2 shown]
	v_add_f32_e32 v38, v40, v60
	v_fmamk_f32 v36, v42, 0x3f737871, v34
	v_dual_add_f32 v40, v52, v62 :: v_dual_sub_f32 v43, v53, v55
	v_dual_sub_f32 v44, v52, v54 :: v_dual_sub_f32 v45, v62, v60
	v_fmac_f32_e32 v34, 0xbf737871, v42
	v_fmac_f32_e32 v39, 0x3e9e377a, v41
	;; [unrolled: 1-line block ×3, first 2 shown]
	v_fma_f32 v5, -0.5, v40, v5
	v_fmac_f32_e32 v36, 0x3f167918, v43
	v_add_f32_e32 v44, v44, v45
	v_dual_add_f32 v15, v15, v65 :: v_dual_fmac_f32 v34, 0xbf167918, v43
	v_sub_f32_e32 v41, v54, v52
	v_dual_sub_f32 v45, v60, v62 :: v_dual_add_f32 v46, v71, v72
	v_dual_add_f32 v47, v6, v63 :: v_dual_fmamk_f32 v40, v43, 0xbf737871, v5
	s_delay_alu instid0(VALU_DEP_2) | instskip(NEXT) | instid1(VALU_DEP_3)
	v_dual_fmac_f32 v36, 0x3e9e377a, v44 :: v_dual_add_f32 v45, v41, v45
	v_fma_f32 v41, -0.5, v46, v6
	v_sub_f32_e32 v46, v70, v50
	v_fmac_f32_e32 v34, 0x3e9e377a, v44
	v_fmac_f32_e32 v5, 0x3f737871, v43
	v_add_f32_e32 v44, v47, v71
	v_add_f32_e32 v52, v63, v49
	v_fmac_f32_e32 v40, 0x3f167918, v42
	v_fmamk_f32 v43, v46, 0xbf737871, v41
	v_sub_f32_e32 v47, v63, v71
	v_sub_f32_e32 v51, v49, v72
	v_dual_fmac_f32 v5, 0xbf167918, v42 :: v_dual_add_f32 v42, v44, v72
	v_fma_f32 v6, -0.5, v52, v6
	v_fmac_f32_e32 v41, 0x3f737871, v46
	v_add_f32_e32 v52, v7, v70
	v_fmac_f32_e32 v40, 0x3e9e377a, v45
	v_dual_fmac_f32 v43, 0xbf167918, v48 :: v_dual_add_f32 v44, v47, v51
	v_fmac_f32_e32 v5, 0x3e9e377a, v45
	v_add_f32_e32 v45, v42, v49
	v_dual_fmamk_f32 v47, v48, 0x3f737871, v6 :: v_dual_sub_f32 v42, v71, v63
	v_sub_f32_e32 v51, v72, v49
	v_fmac_f32_e32 v41, 0x3f167918, v48
	v_dual_add_f32 v53, v73, v74 :: v_dual_fmac_f32 v6, 0xbf737871, v48
	s_delay_alu instid0(VALU_DEP_4) | instskip(NEXT) | instid1(VALU_DEP_4)
	v_dual_add_f32 v48, v52, v73 :: v_dual_fmac_f32 v47, 0xbf167918, v46
	v_add_f32_e32 v51, v42, v51
	s_delay_alu instid0(VALU_DEP_3)
	v_fma_f32 v42, -0.5, v53, v7
	v_sub_f32_e32 v52, v63, v49
	v_fmac_f32_e32 v6, 0x3f167918, v46
	v_add_f32_e32 v46, v48, v74
	v_add_f32_e32 v48, v70, v50
	v_sub_f32_e32 v53, v70, v73
	v_dual_sub_f32 v54, v50, v74 :: v_dual_fmac_f32 v43, 0x3e9e377a, v44
	v_fmac_f32_e32 v41, 0x3e9e377a, v44
	v_fmac_f32_e32 v47, 0x3e9e377a, v51
	v_dual_fmamk_f32 v44, v52, 0x3f737871, v42 :: v_dual_sub_f32 v49, v71, v72
	v_dual_fmac_f32 v6, 0x3e9e377a, v51 :: v_dual_fmac_f32 v7, -0.5, v48
	v_add_f32_e32 v46, v46, v50
	v_dual_add_f32 v51, v53, v54 :: v_dual_fmac_f32 v42, 0xbf737871, v52
	v_sub_f32_e32 v53, v73, v70
	v_sub_f32_e32 v50, v74, v50
	v_add_f32_e32 v54, v20, v23
	v_fmac_f32_e32 v44, 0x3f167918, v49
	v_fmamk_f32 v48, v49, 0xbf737871, v7
	v_fmac_f32_e32 v42, 0xbf167918, v49
	v_dual_add_f32 v50, v53, v50 :: v_dual_fmac_f32 v7, 0x3f737871, v49
	v_add_f32_e32 v53, v0, v21
	v_fma_f32 v49, -0.5, v54, v0
	v_sub_f32_e32 v54, v18, v24
	v_fmac_f32_e32 v44, 0x3e9e377a, v51
	v_fmac_f32_e32 v48, 0x3f167918, v52
	v_fmac_f32_e32 v42, 0x3e9e377a, v51
	v_fmac_f32_e32 v7, 0xbf167918, v52
	v_dual_add_f32 v52, v53, v20 :: v_dual_fmamk_f32 v51, v54, 0xbf737871, v49
	v_sub_f32_e32 v53, v21, v20
	v_sub_f32_e32 v55, v75, v23
	v_fmac_f32_e32 v49, 0x3f737871, v54
	v_add_f32_e32 v57, v21, v75
	v_dual_fmac_f32 v51, 0xbf167918, v56 :: v_dual_add_f32 v52, v52, v23
	s_delay_alu instid0(VALU_DEP_4) | instskip(NEXT) | instid1(VALU_DEP_4)
	v_add_f32_e32 v55, v53, v55
	v_fmac_f32_e32 v49, 0x3f167918, v56
	s_delay_alu instid0(VALU_DEP_4)
	v_fma_f32 v0, -0.5, v57, v0
	v_fmac_f32_e32 v48, 0x3e9e377a, v50
	v_fmac_f32_e32 v7, 0x3e9e377a, v50
	;; [unrolled: 1-line block ×4, first 2 shown]
	v_fmamk_f32 v55, v56, 0x3f737871, v0
	v_fmac_f32_e32 v0, 0xbf737871, v56
	v_add_f32_e32 v56, v1, v18
	v_dual_add_f32 v50, v19, v22 :: v_dual_add_f32 v53, v52, v75
	s_delay_alu instid0(VALU_DEP_4) | instskip(NEXT) | instid1(VALU_DEP_4)
	v_fmac_f32_e32 v55, 0xbf167918, v54
	v_fmac_f32_e32 v0, 0x3f167918, v54
	s_delay_alu instid0(VALU_DEP_4) | instskip(SKIP_3) | instid1(VALU_DEP_3)
	v_add_f32_e32 v54, v56, v19
	v_add_f32_e32 v56, v18, v24
	v_dual_sub_f32 v52, v20, v21 :: v_dual_sub_f32 v57, v23, v75
	v_fma_f32 v50, -0.5, v50, v1
	v_dual_sub_f32 v20, v20, v23 :: v_dual_fmac_f32 v1, -0.5, v56
	v_sub_f32_e32 v21, v21, v75
	s_delay_alu instid0(VALU_DEP_4)
	v_add_f32_e32 v57, v52, v57
	v_add_f32_e32 v23, v54, v22
	v_sub_f32_e32 v54, v18, v19
	v_fmamk_f32 v56, v20, 0xbf737871, v1
	v_dual_sub_f32 v18, v19, v18 :: v_dual_sub_f32 v19, v22, v24
	v_dual_fmac_f32 v1, 0x3f737871, v20 :: v_dual_fmamk_f32 v52, v21, 0x3f737871, v50
	v_fmac_f32_e32 v55, 0x3e9e377a, v57
	v_dual_fmac_f32 v0, 0x3e9e377a, v57 :: v_dual_sub_f32 v57, v24, v22
	v_fmac_f32_e32 v50, 0xbf737871, v21
	v_fmac_f32_e32 v56, 0x3f167918, v21
	v_dual_add_f32 v18, v18, v19 :: v_dual_fmac_f32 v1, 0xbf167918, v21
	v_fmac_f32_e32 v52, 0x3f167918, v20
	v_add_f32_e32 v22, v54, v57
	v_fmac_f32_e32 v50, 0xbf167918, v20
	s_delay_alu instid0(VALU_DEP_4)
	v_fmac_f32_e32 v56, 0x3e9e377a, v18
	v_fmac_f32_e32 v1, 0x3e9e377a, v18
	v_add_nc_u32_e32 v18, 0x800, v158
	v_add_f32_e32 v54, v23, v24
	v_fmac_f32_e32 v52, 0x3e9e377a, v22
	v_add_f32_e32 v38, v38, v62
	v_fmac_f32_e32 v50, 0x3e9e377a, v22
	ds_store_b64 v154, v[14:15]
	ds_store_2addr_b64 v158, v[12:13], v[27:28] offset0:65 offset1:78
	ds_store_2addr_b64 v158, v[16:17], v[31:32] offset0:130 offset1:143
	ds_store_2addr_b64 v158, v[8:9], v[10:11] offset0:195 offset1:208
	ds_store_2addr_b64 v18, v[2:3], v[25:26] offset0:4 offset1:17
	ds_store_2addr_b64 v158, v[29:30], v[37:38] offset0:13 offset1:26
	ds_store_2addr_b64 v158, v[35:36], v[43:44] offset0:91 offset1:104
	ds_store_2addr_b64 v158, v[39:40], v[47:48] offset0:156 offset1:169
	v_add_nc_u32_e32 v2, 0x400, v163
	ds_store_2addr_b64 v158, v[4:5], v[6:7] offset0:221 offset1:234
	ds_store_2addr_b64 v18, v[33:34], v[41:42] offset0:30 offset1:43
	;; [unrolled: 1-line block ×5, first 2 shown]
	global_wb scope:SCOPE_SE
	s_wait_dscnt 0x0
	s_barrier_signal -1
	s_barrier_wait -1
	global_inv scope:SCOPE_SE
	ds_load_2addr_b64 v[0:3], v154 offset1:25
	v_mad_co_u64_u32 v[18:19], null, s6, v134, 0
	v_mad_co_u64_u32 v[20:21], null, s4, v155, 0
	ds_load_b64 v[40:41], v154 offset:2400
	s_wait_dscnt 0x1
	v_mul_f32_e32 v4, v146, v1
	v_mul_f32_e32 v8, v148, v3
	;; [unrolled: 1-line block ×3, first 2 shown]
	s_delay_alu instid0(VALU_DEP_3) | instskip(SKIP_1) | instid1(VALU_DEP_4)
	v_fmac_f32_e32 v4, v145, v0
	v_mul_f32_e32 v0, v146, v0
	v_fmac_f32_e32 v8, v147, v2
	s_wait_dscnt 0x0
	v_mul_f32_e32 v52, v138, v41
	v_mul_f32_e32 v51, v138, v40
	v_cvt_f64_f32_e32 v[4:5], v4
	v_fma_f32 v0, v145, v1, -v0
	v_fma_f32 v1, v147, v3, -v6
	v_fmac_f32_e32 v52, v137, v40
	v_cvt_f64_f32_e32 v[8:9], v8
	v_fma_f32 v54, v137, v41, -v51
	v_cvt_f64_f32_e32 v[6:7], v0
	v_cvt_f64_f32_e32 v[10:11], v1
	ds_load_2addr_b64 v[0:3], v154 offset0:50 offset1:75
	v_cvt_f64_f32_e32 v[52:53], v52
	v_cvt_f64_f32_e32 v[54:55], v54
	s_wait_alu 0xfffe
	v_mul_f64_e32 v[12:13], s[2:3], v[4:5]
	s_wait_dscnt 0x0
	v_mul_f32_e32 v4, v144, v1
	v_mul_f32_e32 v5, v144, v0
	v_mul_f64_e32 v[8:9], s[2:3], v[8:9]
	v_mul_f64_e32 v[14:15], s[2:3], v[6:7]
	;; [unrolled: 1-line block ×3, first 2 shown]
	v_fmac_f32_e32 v4, v143, v0
	v_fma_f32 v5, v143, v1, -v5
	s_delay_alu instid0(VALU_DEP_2) | instskip(NEXT) | instid1(VALU_DEP_2)
	v_cvt_f64_f32_e32 v[0:1], v4
	v_cvt_f64_f32_e32 v[16:17], v5
	v_dual_mov_b32 v4, v19 :: v_dual_mov_b32 v5, v21
	s_delay_alu instid0(VALU_DEP_1)
	v_mad_co_u64_u32 v[21:22], null, s7, v134, v[4:5]
	v_mad_co_u64_u32 v[22:23], null, s5, v155, v[5:6]
	ds_load_2addr_b64 v[4:7], v154 offset0:100 offset1:125
	s_mul_u64 s[6:7], s[4:5], 25
	s_wait_alu 0xfffe
	s_lshl_b64 s[6:7], s[6:7], 3
	v_mov_b32_e32 v19, v21
	v_mov_b32_e32 v21, v22
	s_delay_alu instid0(VALU_DEP_2) | instskip(NEXT) | instid1(VALU_DEP_2)
	v_lshlrev_b64_e32 v[18:19], 3, v[18:19]
	v_lshlrev_b64_e32 v[20:21], 3, v[20:21]
	v_cvt_f32_f64_e32 v22, v[12:13]
	v_mul_f32_e32 v12, v140, v3
	v_mul_f32_e32 v13, v140, v2
	v_cvt_f32_f64_e32 v24, v[8:9]
	v_cvt_f32_f64_e32 v23, v[14:15]
	s_wait_dscnt 0x0
	v_mul_f32_e32 v14, v142, v5
	v_fmac_f32_e32 v12, v139, v2
	v_fma_f32 v2, v139, v3, -v13
	v_mul_f32_e32 v3, v142, v4
	v_cvt_f32_f64_e32 v25, v[10:11]
	ds_load_2addr_b64 v[8:11], v154 offset0:150 offset1:175
	v_fmac_f32_e32 v14, v141, v4
	v_mul_f32_e32 v34, v129, v7
	v_cvt_f64_f32_e32 v[28:29], v2
	v_fma_f32 v3, v141, v5, -v3
	v_add_nc_u32_e32 v2, 0x400, v154
	v_cvt_f64_f32_e32 v[26:27], v12
	v_cvt_f64_f32_e32 v[30:31], v14
	ds_load_2addr_b64 v[12:15], v154 offset0:200 offset1:225
	v_fmac_f32_e32 v34, v128, v6
	v_cvt_f64_f32_e32 v[32:33], v3
	v_mul_f32_e32 v36, v129, v6
	ds_load_2addr_b64 v[3:6], v2 offset0:122 offset1:147
	v_mul_f64_e32 v[0:1], s[2:3], v[0:1]
	v_cvt_f64_f32_e32 v[34:35], v34
	v_mul_f64_e32 v[16:17], s[2:3], v[16:17]
	v_fma_f32 v7, v128, v7, -v36
	s_wait_dscnt 0x2
	v_mul_f32_e32 v37, v131, v9
	v_mul_f32_e32 v38, v131, v8
	;; [unrolled: 1-line block ×4, first 2 shown]
	s_delay_alu instid0(VALU_DEP_4) | instskip(NEXT) | instid1(VALU_DEP_4)
	v_fmac_f32_e32 v37, v130, v8
	v_fma_f32 v38, v130, v9, -v38
	v_cvt_f64_f32_e32 v[7:8], v7
	s_wait_dscnt 0x1
	v_mul_f32_e32 v46, v127, v14
	v_fma_f32 v11, v132, v11, -v36
	v_fmac_f32_e32 v39, v132, v10
	v_cvt_f64_f32_e32 v[9:10], v37
	s_wait_dscnt 0x0
	v_mul_f32_e32 v48, v125, v4
	v_cvt_f64_f32_e32 v[36:37], v38
	v_mul_f32_e32 v45, v127, v15
	v_fma_f32 v15, v126, v15, -v46
	v_cvt_f64_f32_e32 v[42:43], v11
	v_mul_f32_e32 v11, v123, v13
	v_mul_f32_e32 v44, v123, v12
	v_fmac_f32_e32 v48, v124, v3
	v_mul_f32_e32 v3, v125, v3
	v_cvt_f64_f32_e32 v[38:39], v39
	v_cvt_f64_f32_e32 v[46:47], v15
	v_mul_f32_e32 v15, v136, v6
	v_dual_mul_f32 v50, v136, v5 :: v_dual_fmac_f32 v11, v122, v12
	v_fma_f32 v13, v122, v13, -v44
	v_fmac_f32_e32 v45, v126, v14
	v_fma_f32 v3, v124, v4, -v3
	v_fmac_f32_e32 v15, v135, v5
	v_fma_f32 v4, v135, v6, -v50
	v_cvt_f64_f32_e32 v[11:12], v11
	v_cvt_f64_f32_e32 v[13:14], v13
	;; [unrolled: 1-line block ×7, first 2 shown]
	v_add_co_u32 v3, s0, s10, v18
	s_wait_alu 0xf1ff
	v_add_co_ci_u32_e64 v4, s0, s11, v19, s0
	v_mul_f64_e32 v[18:19], s[2:3], v[26:27]
	v_mul_f64_e32 v[26:27], s[2:3], v[28:29]
	v_add_co_u32 v20, s0, v3, v20
	v_mul_f64_e32 v[28:29], s[2:3], v[30:31]
	v_mul_f64_e32 v[30:31], s[2:3], v[32:33]
	;; [unrolled: 1-line block ×4, first 2 shown]
	s_wait_alu 0xf1ff
	v_add_co_ci_u32_e64 v21, s0, v4, v21, s0
	s_wait_alu 0xfffe
	v_add_co_u32 v32, s0, v20, s6
	v_mul_f64_e32 v[9:10], s[2:3], v[9:10]
	v_mul_f64_e32 v[36:37], s[2:3], v[36:37]
	s_wait_alu 0xf1ff
	v_add_co_ci_u32_e64 v33, s0, s7, v21, s0
	s_clause 0x1
	global_store_b64 v[20:21], v[22:23], off
	global_store_b64 v[32:33], v[24:25], off
	v_mul_f64_e32 v[20:21], s[2:3], v[38:39]
	v_mul_f64_e32 v[22:23], s[2:3], v[42:43]
	;; [unrolled: 1-line block ×4, first 2 shown]
	v_cvt_f32_f64_e32 v0, v[0:1]
	v_cvt_f32_f64_e32 v1, v[16:17]
	v_add_co_u32 v15, s0, v32, s6
	v_mul_f64_e32 v[11:12], s[2:3], v[11:12]
	v_mul_f64_e32 v[13:14], s[2:3], v[13:14]
	;; [unrolled: 1-line block ×8, first 2 shown]
	s_wait_alu 0xf1ff
	v_add_co_ci_u32_e64 v16, s0, s7, v33, s0
	v_cvt_f32_f64_e32 v17, v[18:19]
	v_cvt_f32_f64_e32 v18, v[26:27]
	v_add_co_u32 v26, s0, v15, s6
	v_cvt_f32_f64_e32 v28, v[28:29]
	v_cvt_f32_f64_e32 v29, v[30:31]
	;; [unrolled: 1-line block ×4, first 2 shown]
	s_wait_alu 0xf1ff
	v_add_co_ci_u32_e64 v27, s0, s7, v16, s0
	v_add_co_u32 v30, s0, v26, s6
	v_cvt_f32_f64_e32 v7, v[9:10]
	v_cvt_f32_f64_e32 v8, v[36:37]
	s_wait_alu 0xf1ff
	v_add_co_ci_u32_e64 v31, s0, s7, v27, s0
	v_add_co_u32 v9, s0, v30, s6
	v_cvt_f32_f64_e32 v19, v[20:21]
	v_cvt_f32_f64_e32 v20, v[22:23]
	s_wait_alu 0xf1ff
	v_add_co_ci_u32_e64 v10, s0, s7, v31, s0
	v_add_co_u32 v34, s0, v9, s6
	v_cvt_f32_f64_e32 v23, v[46:47]
	s_wait_alu 0xf1ff
	s_delay_alu instid0(VALU_DEP_3)
	v_add_co_ci_u32_e64 v35, s0, s7, v10, s0
	v_cvt_f32_f64_e32 v11, v[11:12]
	v_cvt_f32_f64_e32 v12, v[13:14]
	;; [unrolled: 1-line block ×9, first 2 shown]
	global_store_b64 v[15:16], v[0:1], off
	v_add_co_u32 v0, s0, v34, s6
	s_wait_alu 0xf1ff
	v_add_co_ci_u32_e64 v1, s0, s7, v35, s0
	global_store_b64 v[26:27], v[17:18], off
	v_add_co_u32 v15, s0, v0, s6
	s_wait_alu 0xf1ff
	v_add_co_ci_u32_e64 v16, s0, s7, v1, s0
	;; [unrolled: 4-line block ×6, first 2 shown]
	global_store_b64 v[15:16], v[11:12], off
	global_store_b64 v[17:18], v[13:14], off
	;; [unrolled: 1-line block ×5, first 2 shown]
	s_and_b32 exec_lo, exec_lo, vcc_lo
	s_cbranch_execz .LBB0_15
; %bb.14:
	global_load_b64 v[5:6], v[120:121], off offset:104
	ds_load_b64 v[7:8], v158 offset:104
	v_mad_co_u64_u32 v[0:1], null, 0xfffff708, s4, v[0:1]
	s_mul_i32 s0, s5, 0xfffff708
	s_wait_alu 0xfffe
	s_sub_co_i32 s0, s0, s4
	s_wait_alu 0xfffe
	s_delay_alu instid0(VALU_DEP_1) | instskip(SKIP_3) | instid1(VALU_DEP_2)
	v_add_nc_u32_e32 v1, s0, v1
	s_wait_loadcnt_dscnt 0x0
	v_mul_f32_e32 v9, v8, v6
	v_mul_f32_e32 v6, v7, v6
	v_fmac_f32_e32 v9, v7, v5
	s_delay_alu instid0(VALU_DEP_2) | instskip(NEXT) | instid1(VALU_DEP_2)
	v_fma_f32 v7, v5, v8, -v6
	v_cvt_f64_f32_e32 v[5:6], v9
	s_delay_alu instid0(VALU_DEP_2) | instskip(NEXT) | instid1(VALU_DEP_2)
	v_cvt_f64_f32_e32 v[7:8], v7
	v_mul_f64_e32 v[5:6], s[2:3], v[5:6]
	s_delay_alu instid0(VALU_DEP_2) | instskip(NEXT) | instid1(VALU_DEP_2)
	v_mul_f64_e32 v[7:8], s[2:3], v[7:8]
	v_cvt_f32_f64_e32 v5, v[5:6]
	s_delay_alu instid0(VALU_DEP_2)
	v_cvt_f32_f64_e32 v6, v[7:8]
	global_store_b64 v[0:1], v[5:6], off
	global_load_b64 v[9:10], v[120:121], off offset:304
	ds_load_2addr_b64 v[5:8], v154 offset0:38 offset1:63
	v_add_co_u32 v0, vcc_lo, v0, s6
	s_wait_alu 0xfffd
	v_add_co_ci_u32_e32 v1, vcc_lo, s7, v1, vcc_lo
	s_wait_loadcnt_dscnt 0x0
	v_mul_f32_e32 v11, v6, v10
	v_mul_f32_e32 v10, v5, v10
	s_delay_alu instid0(VALU_DEP_2) | instskip(NEXT) | instid1(VALU_DEP_2)
	v_fmac_f32_e32 v11, v5, v9
	v_fma_f32 v9, v9, v6, -v10
	s_delay_alu instid0(VALU_DEP_2) | instskip(NEXT) | instid1(VALU_DEP_2)
	v_cvt_f64_f32_e32 v[5:6], v11
	v_cvt_f64_f32_e32 v[9:10], v9
	s_delay_alu instid0(VALU_DEP_2) | instskip(NEXT) | instid1(VALU_DEP_2)
	v_mul_f64_e32 v[5:6], s[2:3], v[5:6]
	v_mul_f64_e32 v[9:10], s[2:3], v[9:10]
	s_delay_alu instid0(VALU_DEP_2) | instskip(NEXT) | instid1(VALU_DEP_2)
	v_cvt_f32_f64_e32 v5, v[5:6]
	v_cvt_f32_f64_e32 v6, v[9:10]
	global_store_b64 v[0:1], v[5:6], off
	global_load_b64 v[5:6], v[120:121], off offset:504
	v_add_co_u32 v0, vcc_lo, v0, s6
	s_wait_alu 0xfffd
	v_add_co_ci_u32_e32 v1, vcc_lo, s7, v1, vcc_lo
	s_wait_loadcnt 0x0
	v_mul_f32_e32 v9, v8, v6
	v_mul_f32_e32 v6, v7, v6
	s_delay_alu instid0(VALU_DEP_2) | instskip(NEXT) | instid1(VALU_DEP_2)
	v_fmac_f32_e32 v9, v7, v5
	v_fma_f32 v7, v5, v8, -v6
	s_delay_alu instid0(VALU_DEP_2) | instskip(NEXT) | instid1(VALU_DEP_2)
	v_cvt_f64_f32_e32 v[5:6], v9
	v_cvt_f64_f32_e32 v[7:8], v7
	s_delay_alu instid0(VALU_DEP_2) | instskip(NEXT) | instid1(VALU_DEP_2)
	v_mul_f64_e32 v[5:6], s[2:3], v[5:6]
	v_mul_f64_e32 v[7:8], s[2:3], v[7:8]
	s_delay_alu instid0(VALU_DEP_2) | instskip(NEXT) | instid1(VALU_DEP_2)
	v_cvt_f32_f64_e32 v5, v[5:6]
	v_cvt_f32_f64_e32 v6, v[7:8]
	global_store_b64 v[0:1], v[5:6], off
	global_load_b64 v[9:10], v[120:121], off offset:704
	ds_load_2addr_b64 v[5:8], v154 offset0:88 offset1:113
	v_add_co_u32 v0, vcc_lo, v0, s6
	s_wait_alu 0xfffd
	v_add_co_ci_u32_e32 v1, vcc_lo, s7, v1, vcc_lo
	s_wait_loadcnt_dscnt 0x0
	v_mul_f32_e32 v11, v6, v10
	v_mul_f32_e32 v10, v5, v10
	s_delay_alu instid0(VALU_DEP_2) | instskip(NEXT) | instid1(VALU_DEP_2)
	v_fmac_f32_e32 v11, v5, v9
	v_fma_f32 v9, v9, v6, -v10
	s_delay_alu instid0(VALU_DEP_2) | instskip(NEXT) | instid1(VALU_DEP_2)
	v_cvt_f64_f32_e32 v[5:6], v11
	v_cvt_f64_f32_e32 v[9:10], v9
	s_delay_alu instid0(VALU_DEP_2) | instskip(NEXT) | instid1(VALU_DEP_2)
	v_mul_f64_e32 v[5:6], s[2:3], v[5:6]
	v_mul_f64_e32 v[9:10], s[2:3], v[9:10]
	s_delay_alu instid0(VALU_DEP_2) | instskip(NEXT) | instid1(VALU_DEP_2)
	v_cvt_f32_f64_e32 v5, v[5:6]
	v_cvt_f32_f64_e32 v6, v[9:10]
	global_store_b64 v[0:1], v[5:6], off
	global_load_b64 v[5:6], v[120:121], off offset:904
	v_add_co_u32 v0, vcc_lo, v0, s6
	s_wait_alu 0xfffd
	v_add_co_ci_u32_e32 v1, vcc_lo, s7, v1, vcc_lo
	s_wait_loadcnt 0x0
	v_mul_f32_e32 v9, v8, v6
	v_mul_f32_e32 v6, v7, v6
	s_delay_alu instid0(VALU_DEP_2) | instskip(NEXT) | instid1(VALU_DEP_2)
	v_fmac_f32_e32 v9, v7, v5
	v_fma_f32 v7, v5, v8, -v6
	s_delay_alu instid0(VALU_DEP_2) | instskip(NEXT) | instid1(VALU_DEP_2)
	v_cvt_f64_f32_e32 v[5:6], v9
	v_cvt_f64_f32_e32 v[7:8], v7
	s_delay_alu instid0(VALU_DEP_2) | instskip(NEXT) | instid1(VALU_DEP_2)
	v_mul_f64_e32 v[5:6], s[2:3], v[5:6]
	v_mul_f64_e32 v[7:8], s[2:3], v[7:8]
	s_delay_alu instid0(VALU_DEP_2) | instskip(NEXT) | instid1(VALU_DEP_2)
	v_cvt_f32_f64_e32 v5, v[5:6]
	;; [unrolled: 41-line block ×3, first 2 shown]
	v_cvt_f32_f64_e32 v6, v[7:8]
	global_store_b64 v[0:1], v[5:6], off
	global_load_b64 v[9:10], v[120:121], off offset:1504
	ds_load_2addr_b64 v[5:8], v154 offset0:188 offset1:213
	v_add_co_u32 v0, vcc_lo, v0, s6
	s_wait_alu 0xfffd
	v_add_co_ci_u32_e32 v1, vcc_lo, s7, v1, vcc_lo
	s_wait_loadcnt_dscnt 0x0
	v_mul_f32_e32 v11, v6, v10
	v_mul_f32_e32 v10, v5, v10
	s_delay_alu instid0(VALU_DEP_2) | instskip(NEXT) | instid1(VALU_DEP_2)
	v_fmac_f32_e32 v11, v5, v9
	v_fma_f32 v9, v9, v6, -v10
	s_delay_alu instid0(VALU_DEP_2) | instskip(NEXT) | instid1(VALU_DEP_2)
	v_cvt_f64_f32_e32 v[5:6], v11
	v_cvt_f64_f32_e32 v[9:10], v9
	v_mad_co_u64_u32 v[11:12], null, s4, v153, 0
	s_delay_alu instid0(VALU_DEP_3) | instskip(NEXT) | instid1(VALU_DEP_3)
	v_mul_f64_e32 v[5:6], s[2:3], v[5:6]
	v_mul_f64_e32 v[9:10], s[2:3], v[9:10]
	s_delay_alu instid0(VALU_DEP_2) | instskip(NEXT) | instid1(VALU_DEP_2)
	v_cvt_f32_f64_e32 v5, v[5:6]
	v_cvt_f32_f64_e32 v6, v[9:10]
	global_store_b64 v[0:1], v[5:6], off
	global_load_b64 v[5:6], v[120:121], off offset:1704
	v_add_co_u32 v0, vcc_lo, v0, s6
	s_wait_alu 0xfffd
	v_add_co_ci_u32_e32 v1, vcc_lo, s7, v1, vcc_lo
	s_wait_loadcnt 0x0
	v_mul_f32_e32 v9, v8, v6
	v_mul_f32_e32 v6, v7, v6
	s_delay_alu instid0(VALU_DEP_2) | instskip(NEXT) | instid1(VALU_DEP_2)
	v_fmac_f32_e32 v9, v7, v5
	v_fma_f32 v7, v5, v8, -v6
	s_delay_alu instid0(VALU_DEP_2) | instskip(NEXT) | instid1(VALU_DEP_2)
	v_cvt_f64_f32_e32 v[5:6], v9
	v_cvt_f64_f32_e32 v[7:8], v7
	s_delay_alu instid0(VALU_DEP_2) | instskip(NEXT) | instid1(VALU_DEP_2)
	v_mul_f64_e32 v[5:6], s[2:3], v[5:6]
	v_mul_f64_e32 v[7:8], s[2:3], v[7:8]
	s_delay_alu instid0(VALU_DEP_2) | instskip(NEXT) | instid1(VALU_DEP_2)
	v_cvt_f32_f64_e32 v5, v[5:6]
	v_cvt_f32_f64_e32 v6, v[7:8]
	global_store_b64 v[0:1], v[5:6], off
	global_load_b64 v[9:10], v[120:121], off offset:1904
	ds_load_2addr_b64 v[5:8], v2 offset0:110 offset1:135
	v_add_co_u32 v0, vcc_lo, v0, s6
	s_wait_alu 0xfffd
	v_add_co_ci_u32_e32 v1, vcc_lo, s7, v1, vcc_lo
	s_wait_loadcnt_dscnt 0x0
	v_mul_f32_e32 v2, v6, v10
	v_mul_f32_e32 v10, v5, v10
	s_delay_alu instid0(VALU_DEP_2) | instskip(NEXT) | instid1(VALU_DEP_2)
	v_fmac_f32_e32 v2, v5, v9
	v_fma_f32 v9, v9, v6, -v10
	s_delay_alu instid0(VALU_DEP_2) | instskip(NEXT) | instid1(VALU_DEP_2)
	v_cvt_f64_f32_e32 v[5:6], v2
	v_cvt_f64_f32_e32 v[9:10], v9
	s_delay_alu instid0(VALU_DEP_2) | instskip(NEXT) | instid1(VALU_DEP_2)
	v_mul_f64_e32 v[5:6], s[2:3], v[5:6]
	v_mul_f64_e32 v[9:10], s[2:3], v[9:10]
	s_delay_alu instid0(VALU_DEP_2) | instskip(NEXT) | instid1(VALU_DEP_2)
	v_cvt_f32_f64_e32 v5, v[5:6]
	v_cvt_f32_f64_e32 v6, v[9:10]
	global_store_b64 v[0:1], v[5:6], off
	global_load_b64 v[5:6], v[120:121], off offset:2104
	v_add_co_u32 v0, vcc_lo, v0, s6
	s_wait_alu 0xfffd
	v_add_co_ci_u32_e32 v1, vcc_lo, s7, v1, vcc_lo
	s_wait_loadcnt 0x0
	v_mul_f32_e32 v2, v8, v6
	v_mul_f32_e32 v6, v7, v6
	s_delay_alu instid0(VALU_DEP_2) | instskip(NEXT) | instid1(VALU_DEP_2)
	v_fmac_f32_e32 v2, v7, v5
	v_fma_f32 v7, v5, v8, -v6
	s_delay_alu instid0(VALU_DEP_2) | instskip(NEXT) | instid1(VALU_DEP_2)
	v_cvt_f64_f32_e32 v[5:6], v2
	v_cvt_f64_f32_e32 v[7:8], v7
	s_delay_alu instid0(VALU_DEP_2) | instskip(NEXT) | instid1(VALU_DEP_2)
	v_mul_f64_e32 v[5:6], s[2:3], v[5:6]
	v_mul_f64_e32 v[7:8], s[2:3], v[7:8]
	s_delay_alu instid0(VALU_DEP_2) | instskip(NEXT) | instid1(VALU_DEP_2)
	v_cvt_f32_f64_e32 v5, v[5:6]
	v_cvt_f32_f64_e32 v6, v[7:8]
	global_store_b64 v[0:1], v[5:6], off
	global_load_b64 v[9:10], v[120:121], off offset:2304
	ds_load_2addr_b64 v[5:8], v84 offset0:32 offset1:57
	v_mad_co_u64_u32 v[0:1], null, 0x190, s4, v[0:1]
	s_wait_loadcnt_dscnt 0x0
	v_mul_f32_e32 v2, v6, v10
	v_mul_f32_e32 v10, v5, v10
	s_delay_alu instid0(VALU_DEP_2) | instskip(NEXT) | instid1(VALU_DEP_2)
	v_fmac_f32_e32 v2, v5, v9
	v_fma_f32 v9, v9, v6, -v10
	s_delay_alu instid0(VALU_DEP_2) | instskip(NEXT) | instid1(VALU_DEP_2)
	v_cvt_f64_f32_e32 v[5:6], v2
	v_cvt_f64_f32_e32 v[9:10], v9
	v_mov_b32_e32 v2, v12
	s_delay_alu instid0(VALU_DEP_3) | instskip(NEXT) | instid1(VALU_DEP_3)
	v_mul_f64_e32 v[5:6], s[2:3], v[5:6]
	v_mul_f64_e32 v[9:10], s[2:3], v[9:10]
	s_delay_alu instid0(VALU_DEP_2) | instskip(NEXT) | instid1(VALU_DEP_2)
	v_cvt_f32_f64_e32 v5, v[5:6]
	v_cvt_f32_f64_e32 v6, v[9:10]
	v_mad_co_u64_u32 v[9:10], null, s5, v153, v[2:3]
	s_delay_alu instid0(VALU_DEP_1) | instskip(NEXT) | instid1(VALU_DEP_1)
	v_mov_b32_e32 v12, v9
	v_lshlrev_b64_e32 v[9:10], 3, v[11:12]
	s_delay_alu instid0(VALU_DEP_1) | instskip(SKIP_1) | instid1(VALU_DEP_2)
	v_add_co_u32 v2, vcc_lo, v3, v9
	s_wait_alu 0xfffd
	v_add_co_ci_u32_e32 v3, vcc_lo, v4, v10, vcc_lo
	global_store_b64 v[2:3], v[5:6], off
	global_load_b64 v[2:3], v[120:121], off offset:2504
	s_wait_loadcnt 0x0
	v_mul_f32_e32 v4, v8, v3
	v_mul_f32_e32 v3, v7, v3
	s_delay_alu instid0(VALU_DEP_2) | instskip(NEXT) | instid1(VALU_DEP_2)
	v_fmac_f32_e32 v4, v7, v2
	v_fma_f32 v5, v2, v8, -v3
	s_delay_alu instid0(VALU_DEP_2) | instskip(NEXT) | instid1(VALU_DEP_2)
	v_cvt_f64_f32_e32 v[2:3], v4
	v_cvt_f64_f32_e32 v[4:5], v5
	s_delay_alu instid0(VALU_DEP_2) | instskip(NEXT) | instid1(VALU_DEP_2)
	v_mul_f64_e32 v[2:3], s[2:3], v[2:3]
	v_mul_f64_e32 v[4:5], s[2:3], v[4:5]
	s_delay_alu instid0(VALU_DEP_2) | instskip(NEXT) | instid1(VALU_DEP_2)
	v_cvt_f32_f64_e32 v2, v[2:3]
	v_cvt_f32_f64_e32 v3, v[4:5]
	s_delay_alu instid0(VALU_DEP_2) | instskip(NEXT) | instid1(VALU_DEP_1)
	v_mad_co_u64_u32 v[4:5], null, 0x190, s5, v[1:2]
	v_mov_b32_e32 v1, v4
	global_store_b64 v[0:1], v[2:3], off
.LBB0_15:
	s_nop 0
	s_sendmsg sendmsg(MSG_DEALLOC_VGPRS)
	s_endpgm
	.section	.rodata,"a",@progbits
	.p2align	6, 0x0
	.amdhsa_kernel bluestein_single_fwd_len325_dim1_sp_op_CI_CI
		.amdhsa_group_segment_fixed_size 10400
		.amdhsa_private_segment_fixed_size 0
		.amdhsa_kernarg_size 104
		.amdhsa_user_sgpr_count 2
		.amdhsa_user_sgpr_dispatch_ptr 0
		.amdhsa_user_sgpr_queue_ptr 0
		.amdhsa_user_sgpr_kernarg_segment_ptr 1
		.amdhsa_user_sgpr_dispatch_id 0
		.amdhsa_user_sgpr_private_segment_size 0
		.amdhsa_wavefront_size32 1
		.amdhsa_uses_dynamic_stack 0
		.amdhsa_enable_private_segment 0
		.amdhsa_system_sgpr_workgroup_id_x 1
		.amdhsa_system_sgpr_workgroup_id_y 0
		.amdhsa_system_sgpr_workgroup_id_z 0
		.amdhsa_system_sgpr_workgroup_info 0
		.amdhsa_system_vgpr_workitem_id 0
		.amdhsa_next_free_vgpr 234
		.amdhsa_next_free_sgpr 16
		.amdhsa_reserve_vcc 1
		.amdhsa_float_round_mode_32 0
		.amdhsa_float_round_mode_16_64 0
		.amdhsa_float_denorm_mode_32 3
		.amdhsa_float_denorm_mode_16_64 3
		.amdhsa_fp16_overflow 0
		.amdhsa_workgroup_processor_mode 1
		.amdhsa_memory_ordered 1
		.amdhsa_forward_progress 0
		.amdhsa_round_robin_scheduling 0
		.amdhsa_exception_fp_ieee_invalid_op 0
		.amdhsa_exception_fp_denorm_src 0
		.amdhsa_exception_fp_ieee_div_zero 0
		.amdhsa_exception_fp_ieee_overflow 0
		.amdhsa_exception_fp_ieee_underflow 0
		.amdhsa_exception_fp_ieee_inexact 0
		.amdhsa_exception_int_div_zero 0
	.end_amdhsa_kernel
	.text
.Lfunc_end0:
	.size	bluestein_single_fwd_len325_dim1_sp_op_CI_CI, .Lfunc_end0-bluestein_single_fwd_len325_dim1_sp_op_CI_CI
                                        ; -- End function
	.section	.AMDGPU.csdata,"",@progbits
; Kernel info:
; codeLenInByte = 29004
; NumSgprs: 18
; NumVgprs: 234
; ScratchSize: 0
; MemoryBound: 0
; FloatMode: 240
; IeeeMode: 1
; LDSByteSize: 10400 bytes/workgroup (compile time only)
; SGPRBlocks: 2
; VGPRBlocks: 29
; NumSGPRsForWavesPerEU: 18
; NumVGPRsForWavesPerEU: 234
; Occupancy: 6
; WaveLimiterHint : 1
; COMPUTE_PGM_RSRC2:SCRATCH_EN: 0
; COMPUTE_PGM_RSRC2:USER_SGPR: 2
; COMPUTE_PGM_RSRC2:TRAP_HANDLER: 0
; COMPUTE_PGM_RSRC2:TGID_X_EN: 1
; COMPUTE_PGM_RSRC2:TGID_Y_EN: 0
; COMPUTE_PGM_RSRC2:TGID_Z_EN: 0
; COMPUTE_PGM_RSRC2:TIDIG_COMP_CNT: 0
	.text
	.p2alignl 7, 3214868480
	.fill 96, 4, 3214868480
	.type	__hip_cuid_7cfd0eb13ad21bab,@object ; @__hip_cuid_7cfd0eb13ad21bab
	.section	.bss,"aw",@nobits
	.globl	__hip_cuid_7cfd0eb13ad21bab
__hip_cuid_7cfd0eb13ad21bab:
	.byte	0                               ; 0x0
	.size	__hip_cuid_7cfd0eb13ad21bab, 1

	.ident	"AMD clang version 19.0.0git (https://github.com/RadeonOpenCompute/llvm-project roc-6.4.0 25133 c7fe45cf4b819c5991fe208aaa96edf142730f1d)"
	.section	".note.GNU-stack","",@progbits
	.addrsig
	.addrsig_sym __hip_cuid_7cfd0eb13ad21bab
	.amdgpu_metadata
---
amdhsa.kernels:
  - .args:
      - .actual_access:  read_only
        .address_space:  global
        .offset:         0
        .size:           8
        .value_kind:     global_buffer
      - .actual_access:  read_only
        .address_space:  global
        .offset:         8
        .size:           8
        .value_kind:     global_buffer
      - .actual_access:  read_only
        .address_space:  global
        .offset:         16
        .size:           8
        .value_kind:     global_buffer
      - .actual_access:  read_only
        .address_space:  global
        .offset:         24
        .size:           8
        .value_kind:     global_buffer
      - .actual_access:  read_only
        .address_space:  global
        .offset:         32
        .size:           8
        .value_kind:     global_buffer
      - .offset:         40
        .size:           8
        .value_kind:     by_value
      - .address_space:  global
        .offset:         48
        .size:           8
        .value_kind:     global_buffer
      - .address_space:  global
        .offset:         56
        .size:           8
        .value_kind:     global_buffer
      - .address_space:  global
        .offset:         64
        .size:           8
        .value_kind:     global_buffer
      - .address_space:  global
        .offset:         72
        .size:           8
        .value_kind:     global_buffer
      - .offset:         80
        .size:           4
        .value_kind:     by_value
      - .address_space:  global
        .offset:         88
        .size:           8
        .value_kind:     global_buffer
      - .address_space:  global
        .offset:         96
        .size:           8
        .value_kind:     global_buffer
    .group_segment_fixed_size: 10400
    .kernarg_segment_align: 8
    .kernarg_segment_size: 104
    .language:       OpenCL C
    .language_version:
      - 2
      - 0
    .max_flat_workgroup_size: 52
    .name:           bluestein_single_fwd_len325_dim1_sp_op_CI_CI
    .private_segment_fixed_size: 0
    .sgpr_count:     18
    .sgpr_spill_count: 0
    .symbol:         bluestein_single_fwd_len325_dim1_sp_op_CI_CI.kd
    .uniform_work_group_size: 1
    .uses_dynamic_stack: false
    .vgpr_count:     234
    .vgpr_spill_count: 0
    .wavefront_size: 32
    .workgroup_processor_mode: 1
amdhsa.target:   amdgcn-amd-amdhsa--gfx1201
amdhsa.version:
  - 1
  - 2
...

	.end_amdgpu_metadata
